;; amdgpu-corpus repo=vllm-project/vllm kind=compiled arch=gfx906 opt=O3
	.amdgcn_target "amdgcn-amd-amdhsa--gfx906"
	.amdhsa_code_object_version 6
	.section	.text._ZN4vllm23rotary_embedding_kernelIffLb1EEEvPKlPT_S4_PKT0_illliiilb,"axG",@progbits,_ZN4vllm23rotary_embedding_kernelIffLb1EEEvPKlPT_S4_PKT0_illliiilb,comdat
	.protected	_ZN4vllm23rotary_embedding_kernelIffLb1EEEvPKlPT_S4_PKT0_illliiilb ; -- Begin function _ZN4vllm23rotary_embedding_kernelIffLb1EEEvPKlPT_S4_PKT0_illliiilb
	.globl	_ZN4vllm23rotary_embedding_kernelIffLb1EEEvPKlPT_S4_PKT0_illliiilb
	.p2align	8
	.type	_ZN4vllm23rotary_embedding_kernelIffLb1EEEvPKlPT_S4_PKT0_illliiilb,@function
_ZN4vllm23rotary_embedding_kernelIffLb1EEEvPKlPT_S4_PKT0_illliiilb: ; @_ZN4vllm23rotary_embedding_kernelIffLb1EEEvPKlPT_S4_PKT0_illliiilb
; %bb.0:
	s_load_dword s26, s[4:5], 0x20
	s_load_dword s7, s[4:5], 0x58
	s_load_dwordx2 s[8:9], s[4:5], 0x0
	s_load_dwordx4 s[0:3], s[4:5], 0x10
	s_waitcnt lgkmcnt(0)
	s_ashr_i32 s24, s26, 31
	s_bitcmp1_b32 s7, 0
	s_cselect_b64 s[16:17], -1, 0
	s_ashr_i32 s7, s6, 31
	s_lshl_b64 s[10:11], s[6:7], 3
	s_add_u32 s18, s8, s10
	s_addc_u32 s19, s9, s11
	s_load_dwordx2 s[22:23], s[18:19], 0x0
	s_load_dwordx2 s[20:21], s[4:5], 0x50
	s_load_dwordx8 s[8:15], s[4:5], 0x28
	s_waitcnt lgkmcnt(0)
	s_mul_i32 s18, s22, s24
	s_mul_hi_u32 s19, s22, s26
	s_add_i32 s18, s19, s18
	s_mul_i32 s19, s23, s26
	s_add_i32 s19, s18, s19
	s_mul_i32 s18, s22, s26
	s_lshl_b64 s[18:19], s[18:19], 2
	s_add_u32 s24, s2, s18
	s_addc_u32 s25, s3, s19
	s_lshr_b32 s2, s26, 31
	s_add_i32 s26, s26, s2
	s_ashr_i32 s18, s26, 1
	s_ashr_i32 s19, s18, 31
	s_lshl_b64 s[2:3], s[18:19], 2
	s_add_u32 s19, s24, s2
	s_mul_i32 s14, s14, s18
	s_addc_u32 s26, s25, s3
	v_cmp_gt_i32_e32 vcc, s14, v0
	s_and_saveexec_b64 s[22:23], vcc
	s_cbranch_execz .LBB0_3
; %bb.1:
	s_load_dwordx2 s[28:29], s[4:5], 0x8
	s_mul_i32 s27, s8, s7
	s_mul_hi_u32 s30, s8, s6
	s_add_i32 s27, s30, s27
	s_mul_i32 s9, s9, s6
	s_add_i32 s9, s27, s9
	s_mul_i32 s8, s8, s6
	s_lshl_b64 s[8:9], s[8:9], 2
	s_load_dword s30, s[4:5], 0x6c
	s_waitcnt lgkmcnt(0)
	s_add_u32 s27, s28, s8
	s_addc_u32 s28, s29, s9
	s_lshl_b64 s[8:9], s[20:21], 2
	s_add_u32 s27, s27, s8
	s_addc_u32 s33, s28, s9
	s_abs_i32 s28, s18
	v_cvt_f32_u32_e32 v1, s28
	s_sub_i32 s29, 0, s28
	s_mov_b64 s[8:9], 0
	v_mov_b32_e32 v2, s25
	v_rcp_iflag_f32_e32 v1, v1
	v_mov_b32_e32 v3, s26
	v_mov_b32_e32 v4, s3
	s_sub_i32 s31, 0, s18
	v_mul_f32_e32 v1, 0x4f7ffffe, v1
	v_cvt_u32_f32_e32 v1, v1
	v_mul_lo_u32 v5, s29, v1
	s_and_b32 s29, s30, 0xffff
	s_ashr_i32 s30, s18, 31
	v_mul_hi_u32 v6, v1, v5
	v_mov_b32_e32 v5, s33
	v_add_u32_e32 v6, v1, v6
	v_mov_b32_e32 v1, v0
.LBB0_2:                                ; =>This Inner Loop Header: Depth=1
	v_sub_u32_e32 v8, 0, v1
	v_max_i32_e32 v8, v1, v8
	v_mul_hi_u32 v9, v8, v6
	v_ashrrev_i32_e32 v7, 31, v1
	v_xor_b32_e32 v7, s30, v7
	v_mul_lo_u32 v10, v9, s28
	v_add_u32_e32 v11, 1, v9
	v_sub_u32_e32 v8, v8, v10
	v_cmp_le_u32_e32 vcc, s28, v8
	v_subrev_u32_e32 v10, s28, v8
	v_cndmask_b32_e32 v9, v9, v11, vcc
	v_cndmask_b32_e32 v8, v8, v10, vcc
	v_add_u32_e32 v10, 1, v9
	v_cmp_le_u32_e32 vcc, s28, v8
	v_cndmask_b32_e32 v8, v9, v10, vcc
	v_xor_b32_e32 v8, v8, v7
	v_sub_u32_e32 v9, v8, v7
	v_ashrrev_i32_e32 v11, 31, v9
	v_mul_lo_u32 v12, s13, v9
	v_mad_u64_u32 v[7:8], s[34:35], s12, v9, 0
	v_mad_u64_u32 v[9:10], s[34:35], s31, v9, v[1:2]
	v_mul_lo_u32 v11, s12, v11
	v_add_u32_e32 v1, s29, v1
	v_ashrrev_i32_e32 v10, 31, v9
	v_lshlrev_b64 v[9:10], 2, v[9:10]
	v_add3_u32 v8, v8, v11, v12
	v_add_co_u32_e32 v11, vcc, s24, v9
	v_addc_co_u32_e32 v12, vcc, v2, v10, vcc
	v_lshlrev_b64 v[7:8], 2, v[7:8]
	v_add_co_u32_e32 v13, vcc, s19, v9
	v_addc_co_u32_e32 v14, vcc, v3, v10, vcc
	v_add_co_u32_e32 v7, vcc, s27, v7
	v_addc_co_u32_e32 v8, vcc, v5, v8, vcc
	v_add_co_u32_e32 v7, vcc, v7, v9
	v_addc_co_u32_e32 v8, vcc, v8, v10, vcc
	global_load_dword v15, v[11:12], off
	global_load_dword v16, v[13:14], off
	v_add_co_u32_e32 v9, vcc, s2, v7
	v_addc_co_u32_e32 v10, vcc, v8, v4, vcc
	global_load_dword v11, v[7:8], off
	global_load_dword v12, v[9:10], off
	v_cmp_le_i32_e32 vcc, s14, v1
	s_or_b64 s[8:9], vcc, s[8:9]
	s_waitcnt vmcnt(2)
	v_cndmask_b32_e64 v13, v16, -v16, s[16:17]
	s_waitcnt vmcnt(0)
	v_mul_f32_e32 v14, v13, v12
	v_mul_f32_e32 v12, v15, v12
	v_fma_f32 v14, v15, v11, -v14
	v_fmac_f32_e32 v12, v11, v13
	global_store_dword v[7:8], v14, off
	global_store_dword v[9:10], v12, off
	s_andn2_b64 exec, exec, s[8:9]
	s_cbranch_execnz .LBB0_2
.LBB0_3:
	s_or_b64 exec, exec, s[22:23]
	s_cmp_lg_u64 s[0:1], 0
	s_cbranch_scc0 .LBB0_7
; %bb.4:
	s_mul_i32 s8, s15, s18
	v_cmp_gt_i32_e32 vcc, s8, v0
	s_and_saveexec_b64 s[14:15], vcc
	s_cbranch_execz .LBB0_7
; %bb.5:
	s_mul_i32 s7, s10, s7
	s_mul_hi_u32 s9, s10, s6
	s_add_i32 s7, s9, s7
	s_mul_i32 s9, s11, s6
	s_add_i32 s7, s7, s9
	s_mul_i32 s6, s10, s6
	s_lshl_b64 s[6:7], s[6:7], 2
	s_add_u32 s6, s0, s6
	s_addc_u32 s7, s1, s7
	s_lshl_b64 s[0:1], s[20:21], 2
	s_add_u32 s6, s6, s0
	s_addc_u32 s10, s7, s1
	s_abs_i32 s7, s18
	v_cvt_f32_u32_e32 v1, s7
	s_load_dword s4, s[4:5], 0x6c
	s_sub_i32 s5, 0, s7
	s_mov_b64 s[0:1], 0
	v_rcp_iflag_f32_e32 v1, v1
	v_mov_b32_e32 v2, s26
	s_waitcnt lgkmcnt(0)
	s_and_b32 s4, s4, 0xffff
	s_sub_i32 s9, 0, s18
	v_mul_f32_e32 v1, 0x4f7ffffe, v1
	v_cvt_u32_f32_e32 v4, v1
	v_mov_b32_e32 v1, s25
	v_mul_lo_u32 v3, s5, v4
	s_ashr_i32 s5, s18, 31
	v_mul_hi_u32 v5, v4, v3
	v_mov_b32_e32 v3, s10
	v_add_u32_e32 v4, v4, v5
	v_mov_b32_e32 v5, s3
.LBB0_6:                                ; =>This Inner Loop Header: Depth=1
	v_sub_u32_e32 v7, 0, v0
	v_max_i32_e32 v7, v0, v7
	v_mul_hi_u32 v8, v7, v4
	v_ashrrev_i32_e32 v6, 31, v0
	v_xor_b32_e32 v6, s5, v6
	v_mul_lo_u32 v9, v8, s7
	v_add_u32_e32 v10, 1, v8
	v_sub_u32_e32 v7, v7, v9
	v_cmp_le_u32_e32 vcc, s7, v7
	v_subrev_u32_e32 v9, s7, v7
	v_cndmask_b32_e32 v8, v8, v10, vcc
	v_cndmask_b32_e32 v7, v7, v9, vcc
	v_add_u32_e32 v9, 1, v8
	v_cmp_le_u32_e32 vcc, s7, v7
	v_cndmask_b32_e32 v7, v8, v9, vcc
	v_xor_b32_e32 v7, v7, v6
	v_sub_u32_e32 v8, v7, v6
	v_ashrrev_i32_e32 v10, 31, v8
	v_mul_lo_u32 v11, s13, v8
	v_mad_u64_u32 v[6:7], s[10:11], s12, v8, 0
	v_mad_u64_u32 v[8:9], s[10:11], s9, v8, v[0:1]
	v_mul_lo_u32 v10, s12, v10
	v_add_u32_e32 v0, s4, v0
	v_ashrrev_i32_e32 v9, 31, v8
	v_lshlrev_b64 v[8:9], 2, v[8:9]
	v_add3_u32 v7, v7, v10, v11
	v_add_co_u32_e32 v10, vcc, s24, v8
	v_addc_co_u32_e32 v11, vcc, v1, v9, vcc
	v_lshlrev_b64 v[6:7], 2, v[6:7]
	v_add_co_u32_e32 v12, vcc, s19, v8
	v_addc_co_u32_e32 v13, vcc, v2, v9, vcc
	v_add_co_u32_e32 v6, vcc, s6, v6
	v_addc_co_u32_e32 v7, vcc, v3, v7, vcc
	;; [unrolled: 2-line block ×3, first 2 shown]
	global_load_dword v14, v[10:11], off
	global_load_dword v15, v[12:13], off
	v_add_co_u32_e32 v8, vcc, s2, v6
	v_addc_co_u32_e32 v9, vcc, v7, v5, vcc
	global_load_dword v10, v[6:7], off
	global_load_dword v11, v[8:9], off
	v_cmp_le_i32_e32 vcc, s8, v0
	s_or_b64 s[0:1], vcc, s[0:1]
	s_waitcnt vmcnt(2)
	v_cndmask_b32_e64 v12, v15, -v15, s[16:17]
	s_waitcnt vmcnt(0)
	v_mul_f32_e32 v13, v12, v11
	v_mul_f32_e32 v11, v14, v11
	v_fma_f32 v13, v14, v10, -v13
	v_fmac_f32_e32 v11, v10, v12
	global_store_dword v[6:7], v13, off
	global_store_dword v[8:9], v11, off
	s_andn2_b64 exec, exec, s[0:1]
	s_cbranch_execnz .LBB0_6
.LBB0_7:
	s_endpgm
	.section	.rodata,"a",@progbits
	.p2align	6, 0x0
	.amdhsa_kernel _ZN4vllm23rotary_embedding_kernelIffLb1EEEvPKlPT_S4_PKT0_illliiilb
		.amdhsa_group_segment_fixed_size 0
		.amdhsa_private_segment_fixed_size 0
		.amdhsa_kernarg_size 352
		.amdhsa_user_sgpr_count 6
		.amdhsa_user_sgpr_private_segment_buffer 1
		.amdhsa_user_sgpr_dispatch_ptr 0
		.amdhsa_user_sgpr_queue_ptr 0
		.amdhsa_user_sgpr_kernarg_segment_ptr 1
		.amdhsa_user_sgpr_dispatch_id 0
		.amdhsa_user_sgpr_flat_scratch_init 0
		.amdhsa_user_sgpr_private_segment_size 0
		.amdhsa_uses_dynamic_stack 0
		.amdhsa_system_sgpr_private_segment_wavefront_offset 0
		.amdhsa_system_sgpr_workgroup_id_x 1
		.amdhsa_system_sgpr_workgroup_id_y 0
		.amdhsa_system_sgpr_workgroup_id_z 0
		.amdhsa_system_sgpr_workgroup_info 0
		.amdhsa_system_vgpr_workitem_id 0
		.amdhsa_next_free_vgpr 17
		.amdhsa_next_free_sgpr 36
		.amdhsa_reserve_vcc 1
		.amdhsa_reserve_flat_scratch 0
		.amdhsa_float_round_mode_32 0
		.amdhsa_float_round_mode_16_64 0
		.amdhsa_float_denorm_mode_32 3
		.amdhsa_float_denorm_mode_16_64 3
		.amdhsa_dx10_clamp 1
		.amdhsa_ieee_mode 1
		.amdhsa_fp16_overflow 0
		.amdhsa_exception_fp_ieee_invalid_op 0
		.amdhsa_exception_fp_denorm_src 0
		.amdhsa_exception_fp_ieee_div_zero 0
		.amdhsa_exception_fp_ieee_overflow 0
		.amdhsa_exception_fp_ieee_underflow 0
		.amdhsa_exception_fp_ieee_inexact 0
		.amdhsa_exception_int_div_zero 0
	.end_amdhsa_kernel
	.section	.text._ZN4vllm23rotary_embedding_kernelIffLb1EEEvPKlPT_S4_PKT0_illliiilb,"axG",@progbits,_ZN4vllm23rotary_embedding_kernelIffLb1EEEvPKlPT_S4_PKT0_illliiilb,comdat
.Lfunc_end0:
	.size	_ZN4vllm23rotary_embedding_kernelIffLb1EEEvPKlPT_S4_PKT0_illliiilb, .Lfunc_end0-_ZN4vllm23rotary_embedding_kernelIffLb1EEEvPKlPT_S4_PKT0_illliiilb
                                        ; -- End function
	.set _ZN4vllm23rotary_embedding_kernelIffLb1EEEvPKlPT_S4_PKT0_illliiilb.num_vgpr, 17
	.set _ZN4vllm23rotary_embedding_kernelIffLb1EEEvPKlPT_S4_PKT0_illliiilb.num_agpr, 0
	.set _ZN4vllm23rotary_embedding_kernelIffLb1EEEvPKlPT_S4_PKT0_illliiilb.numbered_sgpr, 36
	.set _ZN4vllm23rotary_embedding_kernelIffLb1EEEvPKlPT_S4_PKT0_illliiilb.num_named_barrier, 0
	.set _ZN4vllm23rotary_embedding_kernelIffLb1EEEvPKlPT_S4_PKT0_illliiilb.private_seg_size, 0
	.set _ZN4vllm23rotary_embedding_kernelIffLb1EEEvPKlPT_S4_PKT0_illliiilb.uses_vcc, 1
	.set _ZN4vllm23rotary_embedding_kernelIffLb1EEEvPKlPT_S4_PKT0_illliiilb.uses_flat_scratch, 0
	.set _ZN4vllm23rotary_embedding_kernelIffLb1EEEvPKlPT_S4_PKT0_illliiilb.has_dyn_sized_stack, 0
	.set _ZN4vllm23rotary_embedding_kernelIffLb1EEEvPKlPT_S4_PKT0_illliiilb.has_recursion, 0
	.set _ZN4vllm23rotary_embedding_kernelIffLb1EEEvPKlPT_S4_PKT0_illliiilb.has_indirect_call, 0
	.section	.AMDGPU.csdata,"",@progbits
; Kernel info:
; codeLenInByte = 1072
; TotalNumSgprs: 40
; NumVgprs: 17
; ScratchSize: 0
; MemoryBound: 0
; FloatMode: 240
; IeeeMode: 1
; LDSByteSize: 0 bytes/workgroup (compile time only)
; SGPRBlocks: 4
; VGPRBlocks: 4
; NumSGPRsForWavesPerEU: 40
; NumVGPRsForWavesPerEU: 17
; Occupancy: 10
; WaveLimiterHint : 1
; COMPUTE_PGM_RSRC2:SCRATCH_EN: 0
; COMPUTE_PGM_RSRC2:USER_SGPR: 6
; COMPUTE_PGM_RSRC2:TRAP_HANDLER: 0
; COMPUTE_PGM_RSRC2:TGID_X_EN: 1
; COMPUTE_PGM_RSRC2:TGID_Y_EN: 0
; COMPUTE_PGM_RSRC2:TGID_Z_EN: 0
; COMPUTE_PGM_RSRC2:TIDIG_COMP_CNT: 0
	.section	.text._ZN4vllm23rotary_embedding_kernelIffLb0EEEvPKlPT_S4_PKT0_illliiilb,"axG",@progbits,_ZN4vllm23rotary_embedding_kernelIffLb0EEEvPKlPT_S4_PKT0_illliiilb,comdat
	.protected	_ZN4vllm23rotary_embedding_kernelIffLb0EEEvPKlPT_S4_PKT0_illliiilb ; -- Begin function _ZN4vllm23rotary_embedding_kernelIffLb0EEEvPKlPT_S4_PKT0_illliiilb
	.globl	_ZN4vllm23rotary_embedding_kernelIffLb0EEEvPKlPT_S4_PKT0_illliiilb
	.p2align	8
	.type	_ZN4vllm23rotary_embedding_kernelIffLb0EEEvPKlPT_S4_PKT0_illliiilb,@function
_ZN4vllm23rotary_embedding_kernelIffLb0EEEvPKlPT_S4_PKT0_illliiilb: ; @_ZN4vllm23rotary_embedding_kernelIffLb0EEEvPKlPT_S4_PKT0_illliiilb
; %bb.0:
	s_load_dword s25, s[4:5], 0x20
	s_load_dword s7, s[4:5], 0x58
	s_load_dwordx2 s[8:9], s[4:5], 0x0
	s_load_dwordx4 s[0:3], s[4:5], 0x10
	s_waitcnt lgkmcnt(0)
	s_ashr_i32 s24, s25, 31
	s_bitcmp1_b32 s7, 0
	s_cselect_b64 s[16:17], -1, 0
	s_ashr_i32 s7, s6, 31
	s_lshl_b64 s[10:11], s[6:7], 3
	s_add_u32 s20, s8, s10
	s_addc_u32 s21, s9, s11
	s_load_dwordx2 s[22:23], s[20:21], 0x0
	s_load_dwordx2 s[18:19], s[4:5], 0x50
	s_load_dwordx8 s[8:15], s[4:5], 0x28
	s_waitcnt lgkmcnt(0)
	s_mul_i32 s20, s22, s24
	s_mul_hi_u32 s21, s22, s25
	s_add_i32 s20, s21, s20
	s_mul_i32 s21, s23, s25
	s_add_i32 s21, s20, s21
	s_mul_i32 s20, s22, s25
	s_lshl_b64 s[20:21], s[20:21], 2
	s_add_u32 s22, s2, s20
	s_addc_u32 s24, s3, s21
	s_lshr_b32 s2, s25, 31
	s_add_i32 s25, s25, s2
	s_ashr_i32 s2, s25, 1
	s_ashr_i32 s3, s2, 31
	s_lshl_b64 s[20:21], s[2:3], 2
	s_add_u32 s23, s22, s20
	s_mul_i32 s14, s14, s2
	s_addc_u32 s25, s24, s21
	v_cmp_gt_i32_e32 vcc, s14, v0
	s_and_saveexec_b64 s[20:21], vcc
	s_cbranch_execz .LBB1_3
; %bb.1:
	s_load_dwordx2 s[26:27], s[4:5], 0x8
	s_mul_i32 s28, s8, s7
	s_mul_hi_u32 s29, s8, s6
	s_add_i32 s28, s29, s28
	s_mul_i32 s9, s9, s6
	s_add_i32 s9, s28, s9
	s_mul_i32 s8, s8, s6
	s_lshl_b64 s[8:9], s[8:9], 2
	s_load_dword s28, s[4:5], 0x6c
	s_waitcnt lgkmcnt(0)
	s_add_u32 s26, s26, s8
	s_addc_u32 s27, s27, s9
	s_lshl_b64 s[8:9], s[18:19], 2
	s_add_u32 s26, s26, s8
	s_addc_u32 s33, s27, s9
	s_abs_i32 s27, s2
	v_cvt_f32_u32_e32 v1, s27
	s_sub_i32 s29, 0, s27
	s_and_b32 s28, s28, 0xffff
	s_lshl_b32 s30, s2, 1
	v_rcp_iflag_f32_e32 v1, v1
	s_mov_b64 s[8:9], 0
	s_sub_i32 s30, 0, s30
	s_lshl_b32 s31, s28, 1
	v_mul_f32_e32 v1, 0x4f7ffffe, v1
	v_cvt_u32_f32_e32 v2, v1
	v_lshlrev_b32_e32 v1, 1, v0
	v_mov_b32_e32 v5, s24
	v_mov_b32_e32 v6, s25
	v_mul_lo_u32 v3, s29, v2
	s_sub_i32 s29, 0, s2
	v_mul_hi_u32 v4, v2, v3
	v_mov_b32_e32 v3, s33
	v_add_u32_e32 v4, v2, v4
	v_mov_b32_e32 v2, v0
.LBB1_2:                                ; =>This Inner Loop Header: Depth=1
	v_sub_u32_e32 v8, 0, v2
	v_max_i32_e32 v8, v2, v8
	v_mul_hi_u32 v9, v8, v4
	v_ashrrev_i32_e32 v7, 31, v2
	v_xor_b32_e32 v7, s3, v7
	v_mul_lo_u32 v10, v9, s27
	v_add_u32_e32 v11, 1, v9
	v_sub_u32_e32 v8, v8, v10
	v_cmp_le_u32_e32 vcc, s27, v8
	v_subrev_u32_e32 v10, s27, v8
	v_cndmask_b32_e32 v9, v9, v11, vcc
	v_cndmask_b32_e32 v8, v8, v10, vcc
	v_add_u32_e32 v10, 1, v9
	v_cmp_le_u32_e32 vcc, s27, v8
	v_cndmask_b32_e32 v8, v9, v10, vcc
	v_xor_b32_e32 v8, v8, v7
	v_sub_u32_e32 v11, v8, v7
	v_mad_u64_u32 v[9:10], s[34:35], s29, v11, v[2:3]
	v_ashrrev_i32_e32 v13, 31, v11
	v_mul_lo_u32 v14, s13, v11
	v_mad_u64_u32 v[7:8], s[34:35], s12, v11, 0
	v_mul_lo_u32 v13, s12, v13
	v_ashrrev_i32_e32 v10, 31, v9
	v_lshlrev_b64 v[9:10], 2, v[9:10]
	v_mad_u64_u32 v[11:12], s[34:35], s30, v11, v[1:2]
	v_add3_u32 v8, v8, v13, v14
	v_add_co_u32_e32 v13, vcc, s22, v9
	v_addc_co_u32_e32 v14, vcc, v5, v10, vcc
	v_lshlrev_b64 v[7:8], 2, v[7:8]
	v_add_co_u32_e32 v9, vcc, s23, v9
	v_ashrrev_i32_e32 v12, 31, v11
	v_addc_co_u32_e32 v10, vcc, v6, v10, vcc
	v_lshlrev_b64 v[11:12], 2, v[11:12]
	v_add_co_u32_e32 v7, vcc, s26, v7
	v_addc_co_u32_e32 v8, vcc, v3, v8, vcc
	v_add_co_u32_e32 v7, vcc, v7, v11
	global_load_dword v15, v[13:14], off
	global_load_dword v16, v[9:10], off
	v_addc_co_u32_e32 v8, vcc, v8, v12, vcc
	global_load_dwordx2 v[9:10], v[7:8], off
	v_add_u32_e32 v2, s28, v2
	v_cmp_le_i32_e32 vcc, s14, v2
	v_add_u32_e32 v1, s31, v1
	s_or_b64 s[8:9], vcc, s[8:9]
	s_waitcnt vmcnt(1)
	v_cndmask_b32_e64 v12, v16, -v16, s[16:17]
	s_waitcnt vmcnt(0)
	v_mul_f32_e32 v13, v12, v10
	v_mul_f32_e32 v11, v15, v10
	v_fma_f32 v10, v15, v9, -v13
	v_fmac_f32_e32 v11, v9, v12
	global_store_dwordx2 v[7:8], v[10:11], off
	s_andn2_b64 exec, exec, s[8:9]
	s_cbranch_execnz .LBB1_2
.LBB1_3:
	s_or_b64 exec, exec, s[20:21]
	s_cmp_lg_u64 s[0:1], 0
	s_cbranch_scc0 .LBB1_7
; %bb.4:
	s_mul_i32 s8, s15, s2
	v_cmp_gt_i32_e32 vcc, s8, v0
	s_and_saveexec_b64 s[14:15], vcc
	s_cbranch_execz .LBB1_7
; %bb.5:
	s_mul_i32 s7, s10, s7
	s_mul_hi_u32 s9, s10, s6
	s_add_i32 s7, s9, s7
	s_mul_i32 s9, s11, s6
	s_add_i32 s7, s7, s9
	s_mul_i32 s6, s10, s6
	s_lshl_b64 s[6:7], s[6:7], 2
	s_add_u32 s6, s0, s6
	s_addc_u32 s7, s1, s7
	s_lshl_b64 s[0:1], s[18:19], 2
	s_add_u32 s6, s6, s0
	s_addc_u32 s10, s7, s1
	s_abs_i32 s7, s2
	v_cvt_f32_u32_e32 v1, s7
	s_load_dword s4, s[4:5], 0x6c
	s_sub_i32 s5, 0, s7
	s_mov_b64 s[0:1], 0
	v_rcp_iflag_f32_e32 v1, v1
	v_mov_b32_e32 v5, s25
	s_waitcnt lgkmcnt(0)
	s_and_b32 s4, s4, 0xffff
	s_lshl_b32 s9, s4, 1
	v_mul_f32_e32 v1, 0x4f7ffffe, v1
	v_cvt_u32_f32_e32 v3, v1
	v_lshlrev_b32_e32 v1, 1, v0
	v_mul_lo_u32 v2, s5, v3
	s_sub_i32 s5, 0, s2
	s_lshl_b32 s2, s2, 1
	s_sub_i32 s2, 0, s2
	v_mul_hi_u32 v4, v3, v2
	v_mov_b32_e32 v2, s10
	v_add_u32_e32 v3, v3, v4
	v_mov_b32_e32 v4, s24
.LBB1_6:                                ; =>This Inner Loop Header: Depth=1
	v_sub_u32_e32 v7, 0, v0
	v_max_i32_e32 v7, v0, v7
	v_mul_hi_u32 v8, v7, v3
	v_ashrrev_i32_e32 v6, 31, v0
	v_xor_b32_e32 v6, s3, v6
	v_mul_lo_u32 v9, v8, s7
	v_add_u32_e32 v10, 1, v8
	v_sub_u32_e32 v7, v7, v9
	v_cmp_le_u32_e32 vcc, s7, v7
	v_subrev_u32_e32 v9, s7, v7
	v_cndmask_b32_e32 v8, v8, v10, vcc
	v_cndmask_b32_e32 v7, v7, v9, vcc
	v_add_u32_e32 v9, 1, v8
	v_cmp_le_u32_e32 vcc, s7, v7
	v_cndmask_b32_e32 v7, v8, v9, vcc
	v_xor_b32_e32 v7, v7, v6
	v_sub_u32_e32 v10, v7, v6
	v_mad_u64_u32 v[8:9], s[10:11], s5, v10, v[0:1]
	v_ashrrev_i32_e32 v12, 31, v10
	v_mul_lo_u32 v13, s13, v10
	v_mad_u64_u32 v[6:7], s[10:11], s12, v10, 0
	v_mul_lo_u32 v12, s12, v12
	v_ashrrev_i32_e32 v9, 31, v8
	v_lshlrev_b64 v[8:9], 2, v[8:9]
	v_mad_u64_u32 v[10:11], s[10:11], s2, v10, v[1:2]
	v_add3_u32 v7, v7, v12, v13
	v_add_co_u32_e32 v12, vcc, s22, v8
	v_addc_co_u32_e32 v13, vcc, v4, v9, vcc
	v_lshlrev_b64 v[6:7], 2, v[6:7]
	v_add_co_u32_e32 v8, vcc, s23, v8
	v_ashrrev_i32_e32 v11, 31, v10
	v_addc_co_u32_e32 v9, vcc, v5, v9, vcc
	v_lshlrev_b64 v[10:11], 2, v[10:11]
	v_add_co_u32_e32 v6, vcc, s6, v6
	v_addc_co_u32_e32 v7, vcc, v2, v7, vcc
	v_add_co_u32_e32 v6, vcc, v6, v10
	global_load_dword v14, v[12:13], off
	global_load_dword v15, v[8:9], off
	v_addc_co_u32_e32 v7, vcc, v7, v11, vcc
	global_load_dwordx2 v[8:9], v[6:7], off
	v_add_u32_e32 v0, s4, v0
	v_cmp_le_i32_e32 vcc, s8, v0
	v_add_u32_e32 v1, s9, v1
	s_or_b64 s[0:1], vcc, s[0:1]
	s_waitcnt vmcnt(1)
	v_cndmask_b32_e64 v11, v15, -v15, s[16:17]
	s_waitcnt vmcnt(0)
	v_mul_f32_e32 v12, v11, v9
	v_mul_f32_e32 v10, v14, v9
	v_fma_f32 v9, v14, v8, -v12
	v_fmac_f32_e32 v10, v8, v11
	global_store_dwordx2 v[6:7], v[9:10], off
	s_andn2_b64 exec, exec, s[0:1]
	s_cbranch_execnz .LBB1_6
.LBB1_7:
	s_endpgm
	.section	.rodata,"a",@progbits
	.p2align	6, 0x0
	.amdhsa_kernel _ZN4vllm23rotary_embedding_kernelIffLb0EEEvPKlPT_S4_PKT0_illliiilb
		.amdhsa_group_segment_fixed_size 0
		.amdhsa_private_segment_fixed_size 0
		.amdhsa_kernarg_size 352
		.amdhsa_user_sgpr_count 6
		.amdhsa_user_sgpr_private_segment_buffer 1
		.amdhsa_user_sgpr_dispatch_ptr 0
		.amdhsa_user_sgpr_queue_ptr 0
		.amdhsa_user_sgpr_kernarg_segment_ptr 1
		.amdhsa_user_sgpr_dispatch_id 0
		.amdhsa_user_sgpr_flat_scratch_init 0
		.amdhsa_user_sgpr_private_segment_size 0
		.amdhsa_uses_dynamic_stack 0
		.amdhsa_system_sgpr_private_segment_wavefront_offset 0
		.amdhsa_system_sgpr_workgroup_id_x 1
		.amdhsa_system_sgpr_workgroup_id_y 0
		.amdhsa_system_sgpr_workgroup_id_z 0
		.amdhsa_system_sgpr_workgroup_info 0
		.amdhsa_system_vgpr_workitem_id 0
		.amdhsa_next_free_vgpr 17
		.amdhsa_next_free_sgpr 36
		.amdhsa_reserve_vcc 1
		.amdhsa_reserve_flat_scratch 0
		.amdhsa_float_round_mode_32 0
		.amdhsa_float_round_mode_16_64 0
		.amdhsa_float_denorm_mode_32 3
		.amdhsa_float_denorm_mode_16_64 3
		.amdhsa_dx10_clamp 1
		.amdhsa_ieee_mode 1
		.amdhsa_fp16_overflow 0
		.amdhsa_exception_fp_ieee_invalid_op 0
		.amdhsa_exception_fp_denorm_src 0
		.amdhsa_exception_fp_ieee_div_zero 0
		.amdhsa_exception_fp_ieee_overflow 0
		.amdhsa_exception_fp_ieee_underflow 0
		.amdhsa_exception_fp_ieee_inexact 0
		.amdhsa_exception_int_div_zero 0
	.end_amdhsa_kernel
	.section	.text._ZN4vllm23rotary_embedding_kernelIffLb0EEEvPKlPT_S4_PKT0_illliiilb,"axG",@progbits,_ZN4vllm23rotary_embedding_kernelIffLb0EEEvPKlPT_S4_PKT0_illliiilb,comdat
.Lfunc_end1:
	.size	_ZN4vllm23rotary_embedding_kernelIffLb0EEEvPKlPT_S4_PKT0_illliiilb, .Lfunc_end1-_ZN4vllm23rotary_embedding_kernelIffLb0EEEvPKlPT_S4_PKT0_illliiilb
                                        ; -- End function
	.set _ZN4vllm23rotary_embedding_kernelIffLb0EEEvPKlPT_S4_PKT0_illliiilb.num_vgpr, 17
	.set _ZN4vllm23rotary_embedding_kernelIffLb0EEEvPKlPT_S4_PKT0_illliiilb.num_agpr, 0
	.set _ZN4vllm23rotary_embedding_kernelIffLb0EEEvPKlPT_S4_PKT0_illliiilb.numbered_sgpr, 36
	.set _ZN4vllm23rotary_embedding_kernelIffLb0EEEvPKlPT_S4_PKT0_illliiilb.num_named_barrier, 0
	.set _ZN4vllm23rotary_embedding_kernelIffLb0EEEvPKlPT_S4_PKT0_illliiilb.private_seg_size, 0
	.set _ZN4vllm23rotary_embedding_kernelIffLb0EEEvPKlPT_S4_PKT0_illliiilb.uses_vcc, 1
	.set _ZN4vllm23rotary_embedding_kernelIffLb0EEEvPKlPT_S4_PKT0_illliiilb.uses_flat_scratch, 0
	.set _ZN4vllm23rotary_embedding_kernelIffLb0EEEvPKlPT_S4_PKT0_illliiilb.has_dyn_sized_stack, 0
	.set _ZN4vllm23rotary_embedding_kernelIffLb0EEEvPKlPT_S4_PKT0_illliiilb.has_recursion, 0
	.set _ZN4vllm23rotary_embedding_kernelIffLb0EEEvPKlPT_S4_PKT0_illliiilb.has_indirect_call, 0
	.section	.AMDGPU.csdata,"",@progbits
; Kernel info:
; codeLenInByte = 1088
; TotalNumSgprs: 40
; NumVgprs: 17
; ScratchSize: 0
; MemoryBound: 0
; FloatMode: 240
; IeeeMode: 1
; LDSByteSize: 0 bytes/workgroup (compile time only)
; SGPRBlocks: 4
; VGPRBlocks: 4
; NumSGPRsForWavesPerEU: 40
; NumVGPRsForWavesPerEU: 17
; Occupancy: 10
; WaveLimiterHint : 1
; COMPUTE_PGM_RSRC2:SCRATCH_EN: 0
; COMPUTE_PGM_RSRC2:USER_SGPR: 6
; COMPUTE_PGM_RSRC2:TRAP_HANDLER: 0
; COMPUTE_PGM_RSRC2:TGID_X_EN: 1
; COMPUTE_PGM_RSRC2:TGID_Y_EN: 0
; COMPUTE_PGM_RSRC2:TGID_Z_EN: 0
; COMPUTE_PGM_RSRC2:TIDIG_COMP_CNT: 0
	.section	.text._ZN4vllm23rotary_embedding_kernelIfN3c104HalfELb1EEEvPKlPT_S6_PKT0_illliiilb,"axG",@progbits,_ZN4vllm23rotary_embedding_kernelIfN3c104HalfELb1EEEvPKlPT_S6_PKT0_illliiilb,comdat
	.protected	_ZN4vllm23rotary_embedding_kernelIfN3c104HalfELb1EEEvPKlPT_S6_PKT0_illliiilb ; -- Begin function _ZN4vllm23rotary_embedding_kernelIfN3c104HalfELb1EEEvPKlPT_S6_PKT0_illliiilb
	.globl	_ZN4vllm23rotary_embedding_kernelIfN3c104HalfELb1EEEvPKlPT_S6_PKT0_illliiilb
	.p2align	8
	.type	_ZN4vllm23rotary_embedding_kernelIfN3c104HalfELb1EEEvPKlPT_S6_PKT0_illliiilb,@function
_ZN4vllm23rotary_embedding_kernelIfN3c104HalfELb1EEEvPKlPT_S6_PKT0_illliiilb: ; @_ZN4vllm23rotary_embedding_kernelIfN3c104HalfELb1EEEvPKlPT_S6_PKT0_illliiilb
; %bb.0:
	s_load_dword s25, s[4:5], 0x20
	s_load_dword s7, s[4:5], 0x58
	s_load_dwordx2 s[8:9], s[4:5], 0x0
	s_load_dwordx4 s[0:3], s[4:5], 0x10
	s_waitcnt lgkmcnt(0)
	s_ashr_i32 s24, s25, 31
	s_bitcmp1_b32 s7, 0
	s_cselect_b64 s[16:17], -1, 0
	s_ashr_i32 s7, s6, 31
	s_lshl_b64 s[10:11], s[6:7], 3
	s_add_u32 s20, s8, s10
	s_addc_u32 s21, s9, s11
	s_load_dwordx2 s[22:23], s[20:21], 0x0
	s_load_dwordx2 s[18:19], s[4:5], 0x50
	s_load_dwordx8 s[8:15], s[4:5], 0x28
	s_waitcnt lgkmcnt(0)
	s_mul_i32 s20, s22, s24
	s_mul_hi_u32 s21, s22, s25
	s_add_i32 s20, s21, s20
	s_mul_i32 s21, s23, s25
	s_add_i32 s21, s20, s21
	s_mul_i32 s20, s22, s25
	s_lshl_b64 s[20:21], s[20:21], 1
	s_add_u32 s24, s2, s20
	s_addc_u32 s26, s3, s21
	s_lshr_b32 s2, s25, 31
	s_add_i32 s25, s25, s2
	s_ashr_i32 s2, s25, 1
	s_ashr_i32 s3, s2, 31
	s_lshl_b64 s[20:21], s[2:3], 1
	s_add_u32 s25, s24, s20
	s_mul_i32 s14, s14, s2
	s_addc_u32 s27, s26, s21
	v_cmp_gt_i32_e32 vcc, s14, v0
	s_and_saveexec_b64 s[20:21], vcc
	s_cbranch_execz .LBB2_3
; %bb.1:
	s_load_dwordx2 s[22:23], s[4:5], 0x8
	s_load_dword s30, s[4:5], 0x6c
	s_mul_i32 s28, s8, s7
	s_mul_hi_u32 s29, s8, s6
	s_add_i32 s28, s29, s28
	s_mul_i32 s9, s9, s6
	s_add_i32 s9, s28, s9
	s_mul_i32 s8, s8, s6
	s_lshl_b64 s[8:9], s[8:9], 2
	s_waitcnt lgkmcnt(0)
	s_add_u32 s22, s22, s8
	s_addc_u32 s23, s23, s9
	s_lshl_b64 s[8:9], s[18:19], 2
	s_add_u32 s28, s22, s8
	s_addc_u32 s34, s23, s9
	s_abs_i32 s29, s2
	v_cvt_f32_u32_e32 v1, s29
	s_sub_i32 s22, 0, s29
	s_mov_b64 s[8:9], 0
	v_mov_b32_e32 v2, s26
	v_rcp_iflag_f32_e32 v1, v1
	v_mov_b32_e32 v3, s27
	s_and_b32 s30, s30, 0xffff
	s_ashr_i32 s31, s2, 31
	v_mul_f32_e32 v1, 0x4f7ffffe, v1
	v_cvt_u32_f32_e32 v1, v1
	s_sub_i32 s33, 0, s2
	v_mul_lo_u32 v4, s22, v1
	s_lshl_b64 s[22:23], s[2:3], 2
	v_mov_b32_e32 v6, s23
	v_mul_hi_u32 v5, v1, v4
	v_mov_b32_e32 v4, s34
	v_add_u32_e32 v5, v1, v5
	v_mov_b32_e32 v1, v0
.LBB2_2:                                ; =>This Inner Loop Header: Depth=1
	v_sub_u32_e32 v8, 0, v1
	v_max_i32_e32 v8, v1, v8
	v_mul_hi_u32 v9, v8, v5
	v_ashrrev_i32_e32 v7, 31, v1
	v_xor_b32_e32 v7, s31, v7
	v_mul_lo_u32 v10, v9, s29
	v_add_u32_e32 v11, 1, v9
	v_sub_u32_e32 v8, v8, v10
	v_cmp_le_u32_e32 vcc, s29, v8
	v_subrev_u32_e32 v10, s29, v8
	v_cndmask_b32_e32 v9, v9, v11, vcc
	v_cndmask_b32_e32 v8, v8, v10, vcc
	v_add_u32_e32 v10, 1, v9
	v_cmp_le_u32_e32 vcc, s29, v8
	v_cndmask_b32_e32 v8, v9, v10, vcc
	v_xor_b32_e32 v8, v8, v7
	v_sub_u32_e32 v9, v8, v7
	v_ashrrev_i32_e32 v11, 31, v9
	v_mul_lo_u32 v12, s13, v9
	v_mad_u64_u32 v[7:8], s[34:35], s12, v9, 0
	v_mad_u64_u32 v[9:10], s[34:35], s33, v9, v[1:2]
	v_mul_lo_u32 v11, s12, v11
	v_add_u32_e32 v1, s30, v1
	v_ashrrev_i32_e32 v10, 31, v9
	v_add3_u32 v8, v8, v11, v12
	v_lshlrev_b64 v[11:12], 1, v[9:10]
	v_lshlrev_b64 v[7:8], 2, v[7:8]
	v_add_co_u32_e32 v13, vcc, s24, v11
	v_addc_co_u32_e32 v14, vcc, v2, v12, vcc
	v_add_co_u32_e32 v11, vcc, s25, v11
	v_addc_co_u32_e32 v12, vcc, v3, v12, vcc
	v_lshlrev_b64 v[9:10], 2, v[9:10]
	v_add_co_u32_e32 v7, vcc, s28, v7
	global_load_ushort v15, v[13:14], off
	global_load_ushort v16, v[11:12], off
	v_addc_co_u32_e32 v8, vcc, v4, v8, vcc
	v_add_co_u32_e32 v7, vcc, v7, v9
	v_addc_co_u32_e32 v8, vcc, v8, v10, vcc
	v_add_co_u32_e32 v9, vcc, s22, v7
	v_addc_co_u32_e32 v10, vcc, v8, v6, vcc
	global_load_dword v11, v[7:8], off
	global_load_dword v12, v[9:10], off
	v_cmp_le_i32_e32 vcc, s14, v1
	s_or_b64 s[8:9], vcc, s[8:9]
	s_waitcnt vmcnt(2)
	v_cvt_f32_f16_e32 v13, v16
	v_cndmask_b32_e64 v13, v13, -v13, s[16:17]
	s_waitcnt vmcnt(0)
	v_mul_f32_e32 v14, v12, v13
	v_mul_f32_e32 v13, v11, v13
	v_fma_mix_f32 v11, v11, v15, -v14 op_sel_hi:[0,1,0]
	v_fma_mix_f32 v12, v12, v15, v13 op_sel_hi:[0,1,0]
	global_store_dword v[7:8], v11, off
	global_store_dword v[9:10], v12, off
	s_andn2_b64 exec, exec, s[8:9]
	s_cbranch_execnz .LBB2_2
.LBB2_3:
	s_or_b64 exec, exec, s[20:21]
	s_cmp_lg_u64 s[0:1], 0
	s_cbranch_scc0 .LBB2_7
; %bb.4:
	s_mul_i32 s8, s15, s2
	v_cmp_gt_i32_e32 vcc, s8, v0
	s_and_saveexec_b64 s[14:15], vcc
	s_cbranch_execz .LBB2_7
; %bb.5:
	s_mul_i32 s7, s10, s7
	s_mul_hi_u32 s9, s10, s6
	s_add_i32 s7, s9, s7
	s_mul_i32 s9, s11, s6
	s_add_i32 s7, s7, s9
	s_mul_i32 s6, s10, s6
	s_lshl_b64 s[6:7], s[6:7], 2
	s_add_u32 s6, s0, s6
	s_addc_u32 s7, s1, s7
	s_lshl_b64 s[0:1], s[18:19], 2
	s_add_u32 s6, s6, s0
	s_addc_u32 s10, s7, s1
	s_abs_i32 s7, s2
	v_cvt_f32_u32_e32 v1, s7
	s_load_dword s4, s[4:5], 0x6c
	s_sub_i32 s5, 0, s7
	s_sub_i32 s9, 0, s2
	v_rcp_iflag_f32_e32 v1, v1
	s_mov_b64 s[0:1], 0
	v_mov_b32_e32 v2, s27
	s_waitcnt lgkmcnt(0)
	s_and_b32 s4, s4, 0xffff
	v_mul_f32_e32 v1, 0x4f7ffffe, v1
	v_cvt_u32_f32_e32 v4, v1
	v_mov_b32_e32 v1, s26
	v_mul_lo_u32 v3, s5, v4
	s_ashr_i32 s5, s2, 31
	s_lshl_b64 s[2:3], s[2:3], 2
	v_mul_hi_u32 v5, v4, v3
	v_mov_b32_e32 v3, s10
	v_add_u32_e32 v4, v4, v5
	v_mov_b32_e32 v5, s3
.LBB2_6:                                ; =>This Inner Loop Header: Depth=1
	v_sub_u32_e32 v7, 0, v0
	v_max_i32_e32 v7, v0, v7
	v_mul_hi_u32 v8, v7, v4
	v_ashrrev_i32_e32 v6, 31, v0
	v_xor_b32_e32 v6, s5, v6
	v_mul_lo_u32 v9, v8, s7
	v_add_u32_e32 v10, 1, v8
	v_sub_u32_e32 v7, v7, v9
	v_cmp_le_u32_e32 vcc, s7, v7
	v_subrev_u32_e32 v9, s7, v7
	v_cndmask_b32_e32 v8, v8, v10, vcc
	v_cndmask_b32_e32 v7, v7, v9, vcc
	v_add_u32_e32 v9, 1, v8
	v_cmp_le_u32_e32 vcc, s7, v7
	v_cndmask_b32_e32 v7, v8, v9, vcc
	v_xor_b32_e32 v7, v7, v6
	v_sub_u32_e32 v8, v7, v6
	v_ashrrev_i32_e32 v10, 31, v8
	v_mul_lo_u32 v11, s13, v8
	v_mad_u64_u32 v[6:7], s[10:11], s12, v8, 0
	v_mad_u64_u32 v[8:9], s[10:11], s9, v8, v[0:1]
	v_mul_lo_u32 v10, s12, v10
	v_add_u32_e32 v0, s4, v0
	v_ashrrev_i32_e32 v9, 31, v8
	v_add3_u32 v7, v7, v10, v11
	v_lshlrev_b64 v[10:11], 1, v[8:9]
	v_lshlrev_b64 v[6:7], 2, v[6:7]
	v_add_co_u32_e32 v12, vcc, s24, v10
	v_addc_co_u32_e32 v13, vcc, v1, v11, vcc
	v_add_co_u32_e32 v10, vcc, s25, v10
	v_addc_co_u32_e32 v11, vcc, v2, v11, vcc
	v_lshlrev_b64 v[8:9], 2, v[8:9]
	v_add_co_u32_e32 v6, vcc, s6, v6
	global_load_ushort v14, v[12:13], off
	global_load_ushort v15, v[10:11], off
	v_addc_co_u32_e32 v7, vcc, v3, v7, vcc
	v_add_co_u32_e32 v6, vcc, v6, v8
	v_addc_co_u32_e32 v7, vcc, v7, v9, vcc
	v_add_co_u32_e32 v8, vcc, s2, v6
	v_addc_co_u32_e32 v9, vcc, v7, v5, vcc
	global_load_dword v10, v[6:7], off
	global_load_dword v11, v[8:9], off
	v_cmp_le_i32_e32 vcc, s8, v0
	s_or_b64 s[0:1], vcc, s[0:1]
	s_waitcnt vmcnt(2)
	v_cvt_f32_f16_e32 v12, v15
	v_cndmask_b32_e64 v12, v12, -v12, s[16:17]
	s_waitcnt vmcnt(0)
	v_mul_f32_e32 v13, v11, v12
	v_mul_f32_e32 v12, v10, v12
	v_fma_mix_f32 v10, v10, v14, -v13 op_sel_hi:[0,1,0]
	v_fma_mix_f32 v11, v11, v14, v12 op_sel_hi:[0,1,0]
	global_store_dword v[6:7], v10, off
	global_store_dword v[8:9], v11, off
	s_andn2_b64 exec, exec, s[0:1]
	s_cbranch_execnz .LBB2_6
.LBB2_7:
	s_endpgm
	.section	.rodata,"a",@progbits
	.p2align	6, 0x0
	.amdhsa_kernel _ZN4vllm23rotary_embedding_kernelIfN3c104HalfELb1EEEvPKlPT_S6_PKT0_illliiilb
		.amdhsa_group_segment_fixed_size 0
		.amdhsa_private_segment_fixed_size 0
		.amdhsa_kernarg_size 352
		.amdhsa_user_sgpr_count 6
		.amdhsa_user_sgpr_private_segment_buffer 1
		.amdhsa_user_sgpr_dispatch_ptr 0
		.amdhsa_user_sgpr_queue_ptr 0
		.amdhsa_user_sgpr_kernarg_segment_ptr 1
		.amdhsa_user_sgpr_dispatch_id 0
		.amdhsa_user_sgpr_flat_scratch_init 0
		.amdhsa_user_sgpr_private_segment_size 0
		.amdhsa_uses_dynamic_stack 0
		.amdhsa_system_sgpr_private_segment_wavefront_offset 0
		.amdhsa_system_sgpr_workgroup_id_x 1
		.amdhsa_system_sgpr_workgroup_id_y 0
		.amdhsa_system_sgpr_workgroup_id_z 0
		.amdhsa_system_sgpr_workgroup_info 0
		.amdhsa_system_vgpr_workitem_id 0
		.amdhsa_next_free_vgpr 17
		.amdhsa_next_free_sgpr 36
		.amdhsa_reserve_vcc 1
		.amdhsa_reserve_flat_scratch 0
		.amdhsa_float_round_mode_32 0
		.amdhsa_float_round_mode_16_64 0
		.amdhsa_float_denorm_mode_32 3
		.amdhsa_float_denorm_mode_16_64 3
		.amdhsa_dx10_clamp 1
		.amdhsa_ieee_mode 1
		.amdhsa_fp16_overflow 0
		.amdhsa_exception_fp_ieee_invalid_op 0
		.amdhsa_exception_fp_denorm_src 0
		.amdhsa_exception_fp_ieee_div_zero 0
		.amdhsa_exception_fp_ieee_overflow 0
		.amdhsa_exception_fp_ieee_underflow 0
		.amdhsa_exception_fp_ieee_inexact 0
		.amdhsa_exception_int_div_zero 0
	.end_amdhsa_kernel
	.section	.text._ZN4vllm23rotary_embedding_kernelIfN3c104HalfELb1EEEvPKlPT_S6_PKT0_illliiilb,"axG",@progbits,_ZN4vllm23rotary_embedding_kernelIfN3c104HalfELb1EEEvPKlPT_S6_PKT0_illliiilb,comdat
.Lfunc_end2:
	.size	_ZN4vllm23rotary_embedding_kernelIfN3c104HalfELb1EEEvPKlPT_S6_PKT0_illliiilb, .Lfunc_end2-_ZN4vllm23rotary_embedding_kernelIfN3c104HalfELb1EEEvPKlPT_S6_PKT0_illliiilb
                                        ; -- End function
	.set _ZN4vllm23rotary_embedding_kernelIfN3c104HalfELb1EEEvPKlPT_S6_PKT0_illliiilb.num_vgpr, 17
	.set _ZN4vllm23rotary_embedding_kernelIfN3c104HalfELb1EEEvPKlPT_S6_PKT0_illliiilb.num_agpr, 0
	.set _ZN4vllm23rotary_embedding_kernelIfN3c104HalfELb1EEEvPKlPT_S6_PKT0_illliiilb.numbered_sgpr, 36
	.set _ZN4vllm23rotary_embedding_kernelIfN3c104HalfELb1EEEvPKlPT_S6_PKT0_illliiilb.num_named_barrier, 0
	.set _ZN4vllm23rotary_embedding_kernelIfN3c104HalfELb1EEEvPKlPT_S6_PKT0_illliiilb.private_seg_size, 0
	.set _ZN4vllm23rotary_embedding_kernelIfN3c104HalfELb1EEEvPKlPT_S6_PKT0_illliiilb.uses_vcc, 1
	.set _ZN4vllm23rotary_embedding_kernelIfN3c104HalfELb1EEEvPKlPT_S6_PKT0_illliiilb.uses_flat_scratch, 0
	.set _ZN4vllm23rotary_embedding_kernelIfN3c104HalfELb1EEEvPKlPT_S6_PKT0_illliiilb.has_dyn_sized_stack, 0
	.set _ZN4vllm23rotary_embedding_kernelIfN3c104HalfELb1EEEvPKlPT_S6_PKT0_illliiilb.has_recursion, 0
	.set _ZN4vllm23rotary_embedding_kernelIfN3c104HalfELb1EEEvPKlPT_S6_PKT0_illliiilb.has_indirect_call, 0
	.section	.AMDGPU.csdata,"",@progbits
; Kernel info:
; codeLenInByte = 1112
; TotalNumSgprs: 40
; NumVgprs: 17
; ScratchSize: 0
; MemoryBound: 0
; FloatMode: 240
; IeeeMode: 1
; LDSByteSize: 0 bytes/workgroup (compile time only)
; SGPRBlocks: 4
; VGPRBlocks: 4
; NumSGPRsForWavesPerEU: 40
; NumVGPRsForWavesPerEU: 17
; Occupancy: 10
; WaveLimiterHint : 1
; COMPUTE_PGM_RSRC2:SCRATCH_EN: 0
; COMPUTE_PGM_RSRC2:USER_SGPR: 6
; COMPUTE_PGM_RSRC2:TRAP_HANDLER: 0
; COMPUTE_PGM_RSRC2:TGID_X_EN: 1
; COMPUTE_PGM_RSRC2:TGID_Y_EN: 0
; COMPUTE_PGM_RSRC2:TGID_Z_EN: 0
; COMPUTE_PGM_RSRC2:TIDIG_COMP_CNT: 0
	.section	.text._ZN4vllm23rotary_embedding_kernelIfN3c104HalfELb0EEEvPKlPT_S6_PKT0_illliiilb,"axG",@progbits,_ZN4vllm23rotary_embedding_kernelIfN3c104HalfELb0EEEvPKlPT_S6_PKT0_illliiilb,comdat
	.protected	_ZN4vllm23rotary_embedding_kernelIfN3c104HalfELb0EEEvPKlPT_S6_PKT0_illliiilb ; -- Begin function _ZN4vllm23rotary_embedding_kernelIfN3c104HalfELb0EEEvPKlPT_S6_PKT0_illliiilb
	.globl	_ZN4vllm23rotary_embedding_kernelIfN3c104HalfELb0EEEvPKlPT_S6_PKT0_illliiilb
	.p2align	8
	.type	_ZN4vllm23rotary_embedding_kernelIfN3c104HalfELb0EEEvPKlPT_S6_PKT0_illliiilb,@function
_ZN4vllm23rotary_embedding_kernelIfN3c104HalfELb0EEEvPKlPT_S6_PKT0_illliiilb: ; @_ZN4vllm23rotary_embedding_kernelIfN3c104HalfELb0EEEvPKlPT_S6_PKT0_illliiilb
; %bb.0:
	s_load_dword s25, s[4:5], 0x20
	s_load_dword s7, s[4:5], 0x58
	s_load_dwordx2 s[8:9], s[4:5], 0x0
	s_load_dwordx4 s[0:3], s[4:5], 0x10
	s_waitcnt lgkmcnt(0)
	s_ashr_i32 s24, s25, 31
	s_bitcmp1_b32 s7, 0
	s_cselect_b64 s[16:17], -1, 0
	s_ashr_i32 s7, s6, 31
	s_lshl_b64 s[10:11], s[6:7], 3
	s_add_u32 s20, s8, s10
	s_addc_u32 s21, s9, s11
	s_load_dwordx2 s[22:23], s[20:21], 0x0
	s_load_dwordx2 s[18:19], s[4:5], 0x50
	s_load_dwordx8 s[8:15], s[4:5], 0x28
	s_waitcnt lgkmcnt(0)
	s_mul_i32 s20, s22, s24
	s_mul_hi_u32 s21, s22, s25
	s_add_i32 s20, s21, s20
	s_mul_i32 s21, s23, s25
	s_add_i32 s21, s20, s21
	s_mul_i32 s20, s22, s25
	s_lshl_b64 s[20:21], s[20:21], 1
	s_add_u32 s22, s2, s20
	s_addc_u32 s24, s3, s21
	s_lshr_b32 s2, s25, 31
	s_add_i32 s25, s25, s2
	s_ashr_i32 s2, s25, 1
	s_ashr_i32 s3, s2, 31
	s_lshl_b64 s[20:21], s[2:3], 1
	s_add_u32 s23, s22, s20
	s_mul_i32 s14, s14, s2
	s_addc_u32 s25, s24, s21
	v_cmp_gt_i32_e32 vcc, s14, v0
	s_and_saveexec_b64 s[20:21], vcc
	s_cbranch_execz .LBB3_3
; %bb.1:
	s_load_dwordx2 s[26:27], s[4:5], 0x8
	s_mul_i32 s28, s8, s7
	s_mul_hi_u32 s29, s8, s6
	s_add_i32 s28, s29, s28
	s_mul_i32 s9, s9, s6
	s_add_i32 s9, s28, s9
	s_mul_i32 s8, s8, s6
	s_lshl_b64 s[8:9], s[8:9], 2
	s_load_dword s28, s[4:5], 0x6c
	s_waitcnt lgkmcnt(0)
	s_add_u32 s26, s26, s8
	s_addc_u32 s27, s27, s9
	s_lshl_b64 s[8:9], s[18:19], 2
	s_add_u32 s26, s26, s8
	s_addc_u32 s33, s27, s9
	s_abs_i32 s27, s2
	v_cvt_f32_u32_e32 v1, s27
	s_sub_i32 s29, 0, s27
	s_and_b32 s28, s28, 0xffff
	s_lshl_b32 s30, s2, 1
	v_rcp_iflag_f32_e32 v1, v1
	s_mov_b64 s[8:9], 0
	s_sub_i32 s30, 0, s30
	s_lshl_b32 s31, s28, 1
	v_mul_f32_e32 v1, 0x4f7ffffe, v1
	v_cvt_u32_f32_e32 v2, v1
	v_lshlrev_b32_e32 v1, 1, v0
	v_mov_b32_e32 v5, s24
	v_mov_b32_e32 v6, s25
	v_mul_lo_u32 v3, s29, v2
	s_sub_i32 s29, 0, s2
	v_mul_hi_u32 v4, v2, v3
	v_mov_b32_e32 v3, s33
	v_add_u32_e32 v4, v2, v4
	v_mov_b32_e32 v2, v0
.LBB3_2:                                ; =>This Inner Loop Header: Depth=1
	v_sub_u32_e32 v8, 0, v2
	v_max_i32_e32 v8, v2, v8
	v_mul_hi_u32 v9, v8, v4
	v_ashrrev_i32_e32 v7, 31, v2
	v_xor_b32_e32 v7, s3, v7
	v_mul_lo_u32 v10, v9, s27
	v_add_u32_e32 v11, 1, v9
	v_sub_u32_e32 v8, v8, v10
	v_cmp_le_u32_e32 vcc, s27, v8
	v_subrev_u32_e32 v10, s27, v8
	v_cndmask_b32_e32 v9, v9, v11, vcc
	v_cndmask_b32_e32 v8, v8, v10, vcc
	v_add_u32_e32 v10, 1, v9
	v_cmp_le_u32_e32 vcc, s27, v8
	v_cndmask_b32_e32 v8, v9, v10, vcc
	v_xor_b32_e32 v8, v8, v7
	v_sub_u32_e32 v11, v8, v7
	v_mad_u64_u32 v[9:10], s[34:35], s29, v11, v[2:3]
	v_ashrrev_i32_e32 v13, 31, v11
	v_mul_lo_u32 v14, s13, v11
	v_mad_u64_u32 v[7:8], s[34:35], s12, v11, 0
	v_mul_lo_u32 v13, s12, v13
	v_ashrrev_i32_e32 v10, 31, v9
	v_lshlrev_b64 v[9:10], 1, v[9:10]
	v_mad_u64_u32 v[11:12], s[34:35], s30, v11, v[1:2]
	v_add3_u32 v8, v8, v13, v14
	v_add_co_u32_e32 v13, vcc, s22, v9
	v_addc_co_u32_e32 v14, vcc, v5, v10, vcc
	v_lshlrev_b64 v[7:8], 2, v[7:8]
	v_add_co_u32_e32 v9, vcc, s23, v9
	v_ashrrev_i32_e32 v12, 31, v11
	v_addc_co_u32_e32 v10, vcc, v6, v10, vcc
	global_load_ushort v15, v[13:14], off
	global_load_ushort v16, v[9:10], off
	v_lshlrev_b64 v[11:12], 2, v[11:12]
	v_add_co_u32_e32 v7, vcc, s26, v7
	v_addc_co_u32_e32 v8, vcc, v3, v8, vcc
	v_add_co_u32_e32 v7, vcc, v7, v11
	v_addc_co_u32_e32 v8, vcc, v8, v12, vcc
	global_load_dwordx2 v[9:10], v[7:8], off
	v_add_u32_e32 v2, s28, v2
	v_cmp_le_i32_e32 vcc, s14, v2
	v_add_u32_e32 v1, s31, v1
	s_or_b64 s[8:9], vcc, s[8:9]
	s_waitcnt vmcnt(1)
	v_cvt_f32_f16_e32 v11, v16
	v_cndmask_b32_e64 v11, v11, -v11, s[16:17]
	s_waitcnt vmcnt(0)
	v_mul_f32_e32 v12, v10, v11
	v_mul_f32_e32 v11, v9, v11
	v_fma_mix_f32 v9, v9, v15, -v12 op_sel_hi:[0,1,0]
	v_fma_mix_f32 v10, v10, v15, v11 op_sel_hi:[0,1,0]
	global_store_dwordx2 v[7:8], v[9:10], off
	s_andn2_b64 exec, exec, s[8:9]
	s_cbranch_execnz .LBB3_2
.LBB3_3:
	s_or_b64 exec, exec, s[20:21]
	s_cmp_lg_u64 s[0:1], 0
	s_cbranch_scc0 .LBB3_7
; %bb.4:
	s_mul_i32 s8, s15, s2
	v_cmp_gt_i32_e32 vcc, s8, v0
	s_and_saveexec_b64 s[14:15], vcc
	s_cbranch_execz .LBB3_7
; %bb.5:
	s_mul_i32 s7, s10, s7
	s_mul_hi_u32 s9, s10, s6
	s_add_i32 s7, s9, s7
	s_mul_i32 s9, s11, s6
	s_add_i32 s7, s7, s9
	s_mul_i32 s6, s10, s6
	s_lshl_b64 s[6:7], s[6:7], 2
	s_add_u32 s6, s0, s6
	s_addc_u32 s7, s1, s7
	s_lshl_b64 s[0:1], s[18:19], 2
	s_add_u32 s6, s6, s0
	s_addc_u32 s10, s7, s1
	s_abs_i32 s7, s2
	v_cvt_f32_u32_e32 v1, s7
	s_load_dword s4, s[4:5], 0x6c
	s_sub_i32 s5, 0, s7
	s_mov_b64 s[0:1], 0
	v_rcp_iflag_f32_e32 v1, v1
	v_mov_b32_e32 v5, s25
	s_waitcnt lgkmcnt(0)
	s_and_b32 s4, s4, 0xffff
	s_lshl_b32 s9, s4, 1
	v_mul_f32_e32 v1, 0x4f7ffffe, v1
	v_cvt_u32_f32_e32 v3, v1
	v_lshlrev_b32_e32 v1, 1, v0
	v_mul_lo_u32 v2, s5, v3
	s_sub_i32 s5, 0, s2
	s_lshl_b32 s2, s2, 1
	s_sub_i32 s2, 0, s2
	v_mul_hi_u32 v4, v3, v2
	v_mov_b32_e32 v2, s10
	v_add_u32_e32 v3, v3, v4
	v_mov_b32_e32 v4, s24
.LBB3_6:                                ; =>This Inner Loop Header: Depth=1
	v_sub_u32_e32 v7, 0, v0
	v_max_i32_e32 v7, v0, v7
	v_mul_hi_u32 v8, v7, v3
	v_ashrrev_i32_e32 v6, 31, v0
	v_xor_b32_e32 v6, s3, v6
	v_mul_lo_u32 v9, v8, s7
	v_add_u32_e32 v10, 1, v8
	v_sub_u32_e32 v7, v7, v9
	v_cmp_le_u32_e32 vcc, s7, v7
	v_subrev_u32_e32 v9, s7, v7
	v_cndmask_b32_e32 v8, v8, v10, vcc
	v_cndmask_b32_e32 v7, v7, v9, vcc
	v_add_u32_e32 v9, 1, v8
	v_cmp_le_u32_e32 vcc, s7, v7
	v_cndmask_b32_e32 v7, v8, v9, vcc
	v_xor_b32_e32 v7, v7, v6
	v_sub_u32_e32 v10, v7, v6
	v_mad_u64_u32 v[8:9], s[10:11], s5, v10, v[0:1]
	v_ashrrev_i32_e32 v12, 31, v10
	v_mul_lo_u32 v13, s13, v10
	v_mad_u64_u32 v[6:7], s[10:11], s12, v10, 0
	v_mul_lo_u32 v12, s12, v12
	v_ashrrev_i32_e32 v9, 31, v8
	v_lshlrev_b64 v[8:9], 1, v[8:9]
	v_mad_u64_u32 v[10:11], s[10:11], s2, v10, v[1:2]
	v_add3_u32 v7, v7, v12, v13
	v_add_co_u32_e32 v12, vcc, s22, v8
	v_addc_co_u32_e32 v13, vcc, v4, v9, vcc
	v_lshlrev_b64 v[6:7], 2, v[6:7]
	v_add_co_u32_e32 v8, vcc, s23, v8
	v_ashrrev_i32_e32 v11, 31, v10
	v_addc_co_u32_e32 v9, vcc, v5, v9, vcc
	global_load_ushort v14, v[12:13], off
	global_load_ushort v15, v[8:9], off
	v_lshlrev_b64 v[10:11], 2, v[10:11]
	v_add_co_u32_e32 v6, vcc, s6, v6
	v_addc_co_u32_e32 v7, vcc, v2, v7, vcc
	v_add_co_u32_e32 v6, vcc, v6, v10
	v_addc_co_u32_e32 v7, vcc, v7, v11, vcc
	global_load_dwordx2 v[8:9], v[6:7], off
	v_add_u32_e32 v0, s4, v0
	v_cmp_le_i32_e32 vcc, s8, v0
	v_add_u32_e32 v1, s9, v1
	s_or_b64 s[0:1], vcc, s[0:1]
	s_waitcnt vmcnt(1)
	v_cvt_f32_f16_e32 v10, v15
	v_cndmask_b32_e64 v10, v10, -v10, s[16:17]
	s_waitcnt vmcnt(0)
	v_mul_f32_e32 v11, v9, v10
	v_mul_f32_e32 v10, v8, v10
	v_fma_mix_f32 v8, v8, v14, -v11 op_sel_hi:[0,1,0]
	v_fma_mix_f32 v9, v9, v14, v10 op_sel_hi:[0,1,0]
	global_store_dwordx2 v[6:7], v[8:9], off
	s_andn2_b64 exec, exec, s[0:1]
	s_cbranch_execnz .LBB3_6
.LBB3_7:
	s_endpgm
	.section	.rodata,"a",@progbits
	.p2align	6, 0x0
	.amdhsa_kernel _ZN4vllm23rotary_embedding_kernelIfN3c104HalfELb0EEEvPKlPT_S6_PKT0_illliiilb
		.amdhsa_group_segment_fixed_size 0
		.amdhsa_private_segment_fixed_size 0
		.amdhsa_kernarg_size 352
		.amdhsa_user_sgpr_count 6
		.amdhsa_user_sgpr_private_segment_buffer 1
		.amdhsa_user_sgpr_dispatch_ptr 0
		.amdhsa_user_sgpr_queue_ptr 0
		.amdhsa_user_sgpr_kernarg_segment_ptr 1
		.amdhsa_user_sgpr_dispatch_id 0
		.amdhsa_user_sgpr_flat_scratch_init 0
		.amdhsa_user_sgpr_private_segment_size 0
		.amdhsa_uses_dynamic_stack 0
		.amdhsa_system_sgpr_private_segment_wavefront_offset 0
		.amdhsa_system_sgpr_workgroup_id_x 1
		.amdhsa_system_sgpr_workgroup_id_y 0
		.amdhsa_system_sgpr_workgroup_id_z 0
		.amdhsa_system_sgpr_workgroup_info 0
		.amdhsa_system_vgpr_workitem_id 0
		.amdhsa_next_free_vgpr 17
		.amdhsa_next_free_sgpr 36
		.amdhsa_reserve_vcc 1
		.amdhsa_reserve_flat_scratch 0
		.amdhsa_float_round_mode_32 0
		.amdhsa_float_round_mode_16_64 0
		.amdhsa_float_denorm_mode_32 3
		.amdhsa_float_denorm_mode_16_64 3
		.amdhsa_dx10_clamp 1
		.amdhsa_ieee_mode 1
		.amdhsa_fp16_overflow 0
		.amdhsa_exception_fp_ieee_invalid_op 0
		.amdhsa_exception_fp_denorm_src 0
		.amdhsa_exception_fp_ieee_div_zero 0
		.amdhsa_exception_fp_ieee_overflow 0
		.amdhsa_exception_fp_ieee_underflow 0
		.amdhsa_exception_fp_ieee_inexact 0
		.amdhsa_exception_int_div_zero 0
	.end_amdhsa_kernel
	.section	.text._ZN4vllm23rotary_embedding_kernelIfN3c104HalfELb0EEEvPKlPT_S6_PKT0_illliiilb,"axG",@progbits,_ZN4vllm23rotary_embedding_kernelIfN3c104HalfELb0EEEvPKlPT_S6_PKT0_illliiilb,comdat
.Lfunc_end3:
	.size	_ZN4vllm23rotary_embedding_kernelIfN3c104HalfELb0EEEvPKlPT_S6_PKT0_illliiilb, .Lfunc_end3-_ZN4vllm23rotary_embedding_kernelIfN3c104HalfELb0EEEvPKlPT_S6_PKT0_illliiilb
                                        ; -- End function
	.set _ZN4vllm23rotary_embedding_kernelIfN3c104HalfELb0EEEvPKlPT_S6_PKT0_illliiilb.num_vgpr, 17
	.set _ZN4vllm23rotary_embedding_kernelIfN3c104HalfELb0EEEvPKlPT_S6_PKT0_illliiilb.num_agpr, 0
	.set _ZN4vllm23rotary_embedding_kernelIfN3c104HalfELb0EEEvPKlPT_S6_PKT0_illliiilb.numbered_sgpr, 36
	.set _ZN4vllm23rotary_embedding_kernelIfN3c104HalfELb0EEEvPKlPT_S6_PKT0_illliiilb.num_named_barrier, 0
	.set _ZN4vllm23rotary_embedding_kernelIfN3c104HalfELb0EEEvPKlPT_S6_PKT0_illliiilb.private_seg_size, 0
	.set _ZN4vllm23rotary_embedding_kernelIfN3c104HalfELb0EEEvPKlPT_S6_PKT0_illliiilb.uses_vcc, 1
	.set _ZN4vllm23rotary_embedding_kernelIfN3c104HalfELb0EEEvPKlPT_S6_PKT0_illliiilb.uses_flat_scratch, 0
	.set _ZN4vllm23rotary_embedding_kernelIfN3c104HalfELb0EEEvPKlPT_S6_PKT0_illliiilb.has_dyn_sized_stack, 0
	.set _ZN4vllm23rotary_embedding_kernelIfN3c104HalfELb0EEEvPKlPT_S6_PKT0_illliiilb.has_recursion, 0
	.set _ZN4vllm23rotary_embedding_kernelIfN3c104HalfELb0EEEvPKlPT_S6_PKT0_illliiilb.has_indirect_call, 0
	.section	.AMDGPU.csdata,"",@progbits
; Kernel info:
; codeLenInByte = 1104
; TotalNumSgprs: 40
; NumVgprs: 17
; ScratchSize: 0
; MemoryBound: 0
; FloatMode: 240
; IeeeMode: 1
; LDSByteSize: 0 bytes/workgroup (compile time only)
; SGPRBlocks: 4
; VGPRBlocks: 4
; NumSGPRsForWavesPerEU: 40
; NumVGPRsForWavesPerEU: 17
; Occupancy: 10
; WaveLimiterHint : 1
; COMPUTE_PGM_RSRC2:SCRATCH_EN: 0
; COMPUTE_PGM_RSRC2:USER_SGPR: 6
; COMPUTE_PGM_RSRC2:TRAP_HANDLER: 0
; COMPUTE_PGM_RSRC2:TGID_X_EN: 1
; COMPUTE_PGM_RSRC2:TGID_Y_EN: 0
; COMPUTE_PGM_RSRC2:TGID_Z_EN: 0
; COMPUTE_PGM_RSRC2:TIDIG_COMP_CNT: 0
	.section	.text._ZN4vllm23rotary_embedding_kernelIfN3c108BFloat16ELb1EEEvPKlPT_S6_PKT0_illliiilb,"axG",@progbits,_ZN4vllm23rotary_embedding_kernelIfN3c108BFloat16ELb1EEEvPKlPT_S6_PKT0_illliiilb,comdat
	.protected	_ZN4vllm23rotary_embedding_kernelIfN3c108BFloat16ELb1EEEvPKlPT_S6_PKT0_illliiilb ; -- Begin function _ZN4vllm23rotary_embedding_kernelIfN3c108BFloat16ELb1EEEvPKlPT_S6_PKT0_illliiilb
	.globl	_ZN4vllm23rotary_embedding_kernelIfN3c108BFloat16ELb1EEEvPKlPT_S6_PKT0_illliiilb
	.p2align	8
	.type	_ZN4vllm23rotary_embedding_kernelIfN3c108BFloat16ELb1EEEvPKlPT_S6_PKT0_illliiilb,@function
_ZN4vllm23rotary_embedding_kernelIfN3c108BFloat16ELb1EEEvPKlPT_S6_PKT0_illliiilb: ; @_ZN4vllm23rotary_embedding_kernelIfN3c108BFloat16ELb1EEEvPKlPT_S6_PKT0_illliiilb
; %bb.0:
	s_load_dword s25, s[4:5], 0x20
	s_load_dword s7, s[4:5], 0x58
	s_load_dwordx2 s[8:9], s[4:5], 0x0
	s_load_dwordx4 s[0:3], s[4:5], 0x10
	s_waitcnt lgkmcnt(0)
	s_ashr_i32 s24, s25, 31
	s_bitcmp1_b32 s7, 0
	s_cselect_b64 s[16:17], -1, 0
	s_ashr_i32 s7, s6, 31
	s_lshl_b64 s[10:11], s[6:7], 3
	s_add_u32 s20, s8, s10
	s_addc_u32 s21, s9, s11
	s_load_dwordx2 s[22:23], s[20:21], 0x0
	s_load_dwordx2 s[18:19], s[4:5], 0x50
	s_load_dwordx8 s[8:15], s[4:5], 0x28
	s_waitcnt lgkmcnt(0)
	s_mul_i32 s20, s22, s24
	s_mul_hi_u32 s21, s22, s25
	s_add_i32 s20, s21, s20
	s_mul_i32 s21, s23, s25
	s_add_i32 s21, s20, s21
	s_mul_i32 s20, s22, s25
	s_lshl_b64 s[20:21], s[20:21], 1
	s_add_u32 s24, s2, s20
	s_addc_u32 s26, s3, s21
	s_lshr_b32 s2, s25, 31
	s_add_i32 s25, s25, s2
	s_ashr_i32 s2, s25, 1
	s_ashr_i32 s3, s2, 31
	s_lshl_b64 s[20:21], s[2:3], 1
	s_add_u32 s25, s24, s20
	s_mul_i32 s14, s14, s2
	s_addc_u32 s27, s26, s21
	v_cmp_gt_i32_e32 vcc, s14, v0
	s_and_saveexec_b64 s[20:21], vcc
	s_cbranch_execz .LBB4_3
; %bb.1:
	s_load_dwordx2 s[22:23], s[4:5], 0x8
	s_load_dword s30, s[4:5], 0x6c
	s_mul_i32 s28, s8, s7
	s_mul_hi_u32 s29, s8, s6
	s_add_i32 s28, s29, s28
	s_mul_i32 s9, s9, s6
	s_add_i32 s9, s28, s9
	s_mul_i32 s8, s8, s6
	s_lshl_b64 s[8:9], s[8:9], 2
	s_waitcnt lgkmcnt(0)
	s_add_u32 s22, s22, s8
	s_addc_u32 s23, s23, s9
	s_lshl_b64 s[8:9], s[18:19], 2
	s_add_u32 s28, s22, s8
	s_addc_u32 s34, s23, s9
	s_abs_i32 s29, s2
	v_cvt_f32_u32_e32 v1, s29
	s_sub_i32 s22, 0, s29
	s_mov_b64 s[8:9], 0
	v_mov_b32_e32 v2, s26
	v_rcp_iflag_f32_e32 v1, v1
	v_mov_b32_e32 v3, s27
	s_and_b32 s30, s30, 0xffff
	s_ashr_i32 s31, s2, 31
	v_mul_f32_e32 v1, 0x4f7ffffe, v1
	v_cvt_u32_f32_e32 v1, v1
	s_sub_i32 s33, 0, s2
	v_mul_lo_u32 v4, s22, v1
	s_lshl_b64 s[22:23], s[2:3], 2
	v_mov_b32_e32 v6, s23
	v_mul_hi_u32 v5, v1, v4
	v_mov_b32_e32 v4, s34
	v_add_u32_e32 v5, v1, v5
	v_mov_b32_e32 v1, v0
.LBB4_2:                                ; =>This Inner Loop Header: Depth=1
	v_sub_u32_e32 v8, 0, v1
	v_max_i32_e32 v8, v1, v8
	v_mul_hi_u32 v9, v8, v5
	v_ashrrev_i32_e32 v7, 31, v1
	v_xor_b32_e32 v7, s31, v7
	v_mul_lo_u32 v10, v9, s29
	v_add_u32_e32 v11, 1, v9
	v_sub_u32_e32 v8, v8, v10
	v_cmp_le_u32_e32 vcc, s29, v8
	v_subrev_u32_e32 v10, s29, v8
	v_cndmask_b32_e32 v9, v9, v11, vcc
	v_cndmask_b32_e32 v8, v8, v10, vcc
	v_add_u32_e32 v10, 1, v9
	v_cmp_le_u32_e32 vcc, s29, v8
	v_cndmask_b32_e32 v8, v9, v10, vcc
	v_xor_b32_e32 v8, v8, v7
	v_sub_u32_e32 v9, v8, v7
	v_ashrrev_i32_e32 v11, 31, v9
	v_mul_lo_u32 v12, s13, v9
	v_mad_u64_u32 v[7:8], s[34:35], s12, v9, 0
	v_mad_u64_u32 v[9:10], s[34:35], s33, v9, v[1:2]
	v_mul_lo_u32 v11, s12, v11
	v_add_u32_e32 v1, s30, v1
	v_ashrrev_i32_e32 v10, 31, v9
	v_add3_u32 v8, v8, v11, v12
	v_lshlrev_b64 v[11:12], 1, v[9:10]
	v_lshlrev_b64 v[7:8], 2, v[7:8]
	v_add_co_u32_e32 v13, vcc, s24, v11
	v_addc_co_u32_e32 v14, vcc, v2, v12, vcc
	v_add_co_u32_e32 v11, vcc, s25, v11
	v_addc_co_u32_e32 v12, vcc, v3, v12, vcc
	v_lshlrev_b64 v[9:10], 2, v[9:10]
	v_add_co_u32_e32 v7, vcc, s28, v7
	v_addc_co_u32_e32 v8, vcc, v4, v8, vcc
	v_add_co_u32_e32 v7, vcc, v7, v9
	global_load_ushort v15, v[13:14], off
	global_load_ushort v16, v[11:12], off
	v_addc_co_u32_e32 v8, vcc, v8, v10, vcc
	v_add_co_u32_e32 v9, vcc, s22, v7
	v_addc_co_u32_e32 v10, vcc, v8, v6, vcc
	global_load_dword v11, v[7:8], off
	global_load_dword v12, v[9:10], off
	v_cmp_le_i32_e32 vcc, s14, v1
	s_or_b64 s[8:9], vcc, s[8:9]
	s_waitcnt vmcnt(3)
	v_lshlrev_b32_e32 v13, 16, v15
	s_waitcnt vmcnt(2)
	v_lshlrev_b32_e32 v14, 16, v16
	v_cndmask_b32_e64 v14, v14, -v14, s[16:17]
	s_waitcnt vmcnt(1)
	v_mul_f32_e32 v15, v11, v14
	s_waitcnt vmcnt(0)
	v_mul_f32_e32 v14, v12, v14
	v_fma_f32 v11, v11, v13, -v14
	v_fmac_f32_e32 v15, v12, v13
	global_store_dword v[7:8], v11, off
	global_store_dword v[9:10], v15, off
	s_andn2_b64 exec, exec, s[8:9]
	s_cbranch_execnz .LBB4_2
.LBB4_3:
	s_or_b64 exec, exec, s[20:21]
	s_cmp_lg_u64 s[0:1], 0
	s_cbranch_scc0 .LBB4_7
; %bb.4:
	s_mul_i32 s8, s15, s2
	v_cmp_gt_i32_e32 vcc, s8, v0
	s_and_saveexec_b64 s[14:15], vcc
	s_cbranch_execz .LBB4_7
; %bb.5:
	s_mul_i32 s7, s10, s7
	s_mul_hi_u32 s9, s10, s6
	s_add_i32 s7, s9, s7
	s_mul_i32 s9, s11, s6
	s_add_i32 s7, s7, s9
	s_mul_i32 s6, s10, s6
	s_lshl_b64 s[6:7], s[6:7], 2
	s_add_u32 s6, s0, s6
	s_addc_u32 s7, s1, s7
	s_lshl_b64 s[0:1], s[18:19], 2
	s_add_u32 s6, s6, s0
	s_addc_u32 s10, s7, s1
	s_abs_i32 s7, s2
	v_cvt_f32_u32_e32 v1, s7
	s_load_dword s4, s[4:5], 0x6c
	s_sub_i32 s5, 0, s7
	s_sub_i32 s9, 0, s2
	v_rcp_iflag_f32_e32 v1, v1
	s_mov_b64 s[0:1], 0
	v_mov_b32_e32 v2, s27
	s_waitcnt lgkmcnt(0)
	s_and_b32 s4, s4, 0xffff
	v_mul_f32_e32 v1, 0x4f7ffffe, v1
	v_cvt_u32_f32_e32 v4, v1
	v_mov_b32_e32 v1, s26
	v_mul_lo_u32 v3, s5, v4
	s_ashr_i32 s5, s2, 31
	s_lshl_b64 s[2:3], s[2:3], 2
	v_mul_hi_u32 v5, v4, v3
	v_mov_b32_e32 v3, s10
	v_add_u32_e32 v4, v4, v5
	v_mov_b32_e32 v5, s3
.LBB4_6:                                ; =>This Inner Loop Header: Depth=1
	v_sub_u32_e32 v7, 0, v0
	v_max_i32_e32 v7, v0, v7
	v_mul_hi_u32 v8, v7, v4
	v_ashrrev_i32_e32 v6, 31, v0
	v_xor_b32_e32 v6, s5, v6
	v_mul_lo_u32 v9, v8, s7
	v_add_u32_e32 v10, 1, v8
	v_sub_u32_e32 v7, v7, v9
	v_cmp_le_u32_e32 vcc, s7, v7
	v_subrev_u32_e32 v9, s7, v7
	v_cndmask_b32_e32 v8, v8, v10, vcc
	v_cndmask_b32_e32 v7, v7, v9, vcc
	v_add_u32_e32 v9, 1, v8
	v_cmp_le_u32_e32 vcc, s7, v7
	v_cndmask_b32_e32 v7, v8, v9, vcc
	v_xor_b32_e32 v7, v7, v6
	v_sub_u32_e32 v8, v7, v6
	v_ashrrev_i32_e32 v10, 31, v8
	v_mul_lo_u32 v11, s13, v8
	v_mad_u64_u32 v[6:7], s[10:11], s12, v8, 0
	v_mad_u64_u32 v[8:9], s[10:11], s9, v8, v[0:1]
	v_mul_lo_u32 v10, s12, v10
	v_add_u32_e32 v0, s4, v0
	v_ashrrev_i32_e32 v9, 31, v8
	v_add3_u32 v7, v7, v10, v11
	v_lshlrev_b64 v[10:11], 1, v[8:9]
	v_lshlrev_b64 v[6:7], 2, v[6:7]
	v_add_co_u32_e32 v12, vcc, s24, v10
	v_addc_co_u32_e32 v13, vcc, v1, v11, vcc
	v_add_co_u32_e32 v10, vcc, s25, v10
	v_addc_co_u32_e32 v11, vcc, v2, v11, vcc
	v_lshlrev_b64 v[8:9], 2, v[8:9]
	v_add_co_u32_e32 v6, vcc, s6, v6
	v_addc_co_u32_e32 v7, vcc, v3, v7, vcc
	v_add_co_u32_e32 v6, vcc, v6, v8
	global_load_ushort v14, v[12:13], off
	global_load_ushort v15, v[10:11], off
	v_addc_co_u32_e32 v7, vcc, v7, v9, vcc
	v_add_co_u32_e32 v8, vcc, s2, v6
	v_addc_co_u32_e32 v9, vcc, v7, v5, vcc
	global_load_dword v10, v[6:7], off
	global_load_dword v11, v[8:9], off
	v_cmp_le_i32_e32 vcc, s8, v0
	s_or_b64 s[0:1], vcc, s[0:1]
	s_waitcnt vmcnt(3)
	v_lshlrev_b32_e32 v12, 16, v14
	s_waitcnt vmcnt(2)
	v_lshlrev_b32_e32 v13, 16, v15
	v_cndmask_b32_e64 v13, v13, -v13, s[16:17]
	s_waitcnt vmcnt(1)
	v_mul_f32_e32 v14, v10, v13
	s_waitcnt vmcnt(0)
	v_mul_f32_e32 v13, v11, v13
	v_fma_f32 v10, v10, v12, -v13
	v_fmac_f32_e32 v14, v11, v12
	global_store_dword v[6:7], v10, off
	global_store_dword v[8:9], v14, off
	s_andn2_b64 exec, exec, s[0:1]
	s_cbranch_execnz .LBB4_6
.LBB4_7:
	s_endpgm
	.section	.rodata,"a",@progbits
	.p2align	6, 0x0
	.amdhsa_kernel _ZN4vllm23rotary_embedding_kernelIfN3c108BFloat16ELb1EEEvPKlPT_S6_PKT0_illliiilb
		.amdhsa_group_segment_fixed_size 0
		.amdhsa_private_segment_fixed_size 0
		.amdhsa_kernarg_size 352
		.amdhsa_user_sgpr_count 6
		.amdhsa_user_sgpr_private_segment_buffer 1
		.amdhsa_user_sgpr_dispatch_ptr 0
		.amdhsa_user_sgpr_queue_ptr 0
		.amdhsa_user_sgpr_kernarg_segment_ptr 1
		.amdhsa_user_sgpr_dispatch_id 0
		.amdhsa_user_sgpr_flat_scratch_init 0
		.amdhsa_user_sgpr_private_segment_size 0
		.amdhsa_uses_dynamic_stack 0
		.amdhsa_system_sgpr_private_segment_wavefront_offset 0
		.amdhsa_system_sgpr_workgroup_id_x 1
		.amdhsa_system_sgpr_workgroup_id_y 0
		.amdhsa_system_sgpr_workgroup_id_z 0
		.amdhsa_system_sgpr_workgroup_info 0
		.amdhsa_system_vgpr_workitem_id 0
		.amdhsa_next_free_vgpr 17
		.amdhsa_next_free_sgpr 36
		.amdhsa_reserve_vcc 1
		.amdhsa_reserve_flat_scratch 0
		.amdhsa_float_round_mode_32 0
		.amdhsa_float_round_mode_16_64 0
		.amdhsa_float_denorm_mode_32 3
		.amdhsa_float_denorm_mode_16_64 3
		.amdhsa_dx10_clamp 1
		.amdhsa_ieee_mode 1
		.amdhsa_fp16_overflow 0
		.amdhsa_exception_fp_ieee_invalid_op 0
		.amdhsa_exception_fp_denorm_src 0
		.amdhsa_exception_fp_ieee_div_zero 0
		.amdhsa_exception_fp_ieee_overflow 0
		.amdhsa_exception_fp_ieee_underflow 0
		.amdhsa_exception_fp_ieee_inexact 0
		.amdhsa_exception_int_div_zero 0
	.end_amdhsa_kernel
	.section	.text._ZN4vllm23rotary_embedding_kernelIfN3c108BFloat16ELb1EEEvPKlPT_S6_PKT0_illliiilb,"axG",@progbits,_ZN4vllm23rotary_embedding_kernelIfN3c108BFloat16ELb1EEEvPKlPT_S6_PKT0_illliiilb,comdat
.Lfunc_end4:
	.size	_ZN4vllm23rotary_embedding_kernelIfN3c108BFloat16ELb1EEEvPKlPT_S6_PKT0_illliiilb, .Lfunc_end4-_ZN4vllm23rotary_embedding_kernelIfN3c108BFloat16ELb1EEEvPKlPT_S6_PKT0_illliiilb
                                        ; -- End function
	.set _ZN4vllm23rotary_embedding_kernelIfN3c108BFloat16ELb1EEEvPKlPT_S6_PKT0_illliiilb.num_vgpr, 17
	.set _ZN4vllm23rotary_embedding_kernelIfN3c108BFloat16ELb1EEEvPKlPT_S6_PKT0_illliiilb.num_agpr, 0
	.set _ZN4vllm23rotary_embedding_kernelIfN3c108BFloat16ELb1EEEvPKlPT_S6_PKT0_illliiilb.numbered_sgpr, 36
	.set _ZN4vllm23rotary_embedding_kernelIfN3c108BFloat16ELb1EEEvPKlPT_S6_PKT0_illliiilb.num_named_barrier, 0
	.set _ZN4vllm23rotary_embedding_kernelIfN3c108BFloat16ELb1EEEvPKlPT_S6_PKT0_illliiilb.private_seg_size, 0
	.set _ZN4vllm23rotary_embedding_kernelIfN3c108BFloat16ELb1EEEvPKlPT_S6_PKT0_illliiilb.uses_vcc, 1
	.set _ZN4vllm23rotary_embedding_kernelIfN3c108BFloat16ELb1EEEvPKlPT_S6_PKT0_illliiilb.uses_flat_scratch, 0
	.set _ZN4vllm23rotary_embedding_kernelIfN3c108BFloat16ELb1EEEvPKlPT_S6_PKT0_illliiilb.has_dyn_sized_stack, 0
	.set _ZN4vllm23rotary_embedding_kernelIfN3c108BFloat16ELb1EEEvPKlPT_S6_PKT0_illliiilb.has_recursion, 0
	.set _ZN4vllm23rotary_embedding_kernelIfN3c108BFloat16ELb1EEEvPKlPT_S6_PKT0_illliiilb.has_indirect_call, 0
	.section	.AMDGPU.csdata,"",@progbits
; Kernel info:
; codeLenInByte = 1128
; TotalNumSgprs: 40
; NumVgprs: 17
; ScratchSize: 0
; MemoryBound: 0
; FloatMode: 240
; IeeeMode: 1
; LDSByteSize: 0 bytes/workgroup (compile time only)
; SGPRBlocks: 4
; VGPRBlocks: 4
; NumSGPRsForWavesPerEU: 40
; NumVGPRsForWavesPerEU: 17
; Occupancy: 10
; WaveLimiterHint : 1
; COMPUTE_PGM_RSRC2:SCRATCH_EN: 0
; COMPUTE_PGM_RSRC2:USER_SGPR: 6
; COMPUTE_PGM_RSRC2:TRAP_HANDLER: 0
; COMPUTE_PGM_RSRC2:TGID_X_EN: 1
; COMPUTE_PGM_RSRC2:TGID_Y_EN: 0
; COMPUTE_PGM_RSRC2:TGID_Z_EN: 0
; COMPUTE_PGM_RSRC2:TIDIG_COMP_CNT: 0
	.section	.text._ZN4vllm23rotary_embedding_kernelIfN3c108BFloat16ELb0EEEvPKlPT_S6_PKT0_illliiilb,"axG",@progbits,_ZN4vllm23rotary_embedding_kernelIfN3c108BFloat16ELb0EEEvPKlPT_S6_PKT0_illliiilb,comdat
	.protected	_ZN4vllm23rotary_embedding_kernelIfN3c108BFloat16ELb0EEEvPKlPT_S6_PKT0_illliiilb ; -- Begin function _ZN4vllm23rotary_embedding_kernelIfN3c108BFloat16ELb0EEEvPKlPT_S6_PKT0_illliiilb
	.globl	_ZN4vllm23rotary_embedding_kernelIfN3c108BFloat16ELb0EEEvPKlPT_S6_PKT0_illliiilb
	.p2align	8
	.type	_ZN4vllm23rotary_embedding_kernelIfN3c108BFloat16ELb0EEEvPKlPT_S6_PKT0_illliiilb,@function
_ZN4vllm23rotary_embedding_kernelIfN3c108BFloat16ELb0EEEvPKlPT_S6_PKT0_illliiilb: ; @_ZN4vllm23rotary_embedding_kernelIfN3c108BFloat16ELb0EEEvPKlPT_S6_PKT0_illliiilb
; %bb.0:
	s_load_dword s25, s[4:5], 0x20
	s_load_dword s7, s[4:5], 0x58
	s_load_dwordx2 s[8:9], s[4:5], 0x0
	s_load_dwordx4 s[0:3], s[4:5], 0x10
	s_waitcnt lgkmcnt(0)
	s_ashr_i32 s24, s25, 31
	s_bitcmp1_b32 s7, 0
	s_cselect_b64 s[16:17], -1, 0
	s_ashr_i32 s7, s6, 31
	s_lshl_b64 s[10:11], s[6:7], 3
	s_add_u32 s20, s8, s10
	s_addc_u32 s21, s9, s11
	s_load_dwordx2 s[22:23], s[20:21], 0x0
	s_load_dwordx2 s[18:19], s[4:5], 0x50
	s_load_dwordx8 s[8:15], s[4:5], 0x28
	s_waitcnt lgkmcnt(0)
	s_mul_i32 s20, s22, s24
	s_mul_hi_u32 s21, s22, s25
	s_add_i32 s20, s21, s20
	s_mul_i32 s21, s23, s25
	s_add_i32 s21, s20, s21
	s_mul_i32 s20, s22, s25
	s_lshl_b64 s[20:21], s[20:21], 1
	s_add_u32 s22, s2, s20
	s_addc_u32 s24, s3, s21
	s_lshr_b32 s2, s25, 31
	s_add_i32 s25, s25, s2
	s_ashr_i32 s2, s25, 1
	s_ashr_i32 s3, s2, 31
	s_lshl_b64 s[20:21], s[2:3], 1
	s_add_u32 s23, s22, s20
	s_mul_i32 s14, s14, s2
	s_addc_u32 s25, s24, s21
	v_cmp_gt_i32_e32 vcc, s14, v0
	s_and_saveexec_b64 s[20:21], vcc
	s_cbranch_execz .LBB5_3
; %bb.1:
	s_load_dwordx2 s[26:27], s[4:5], 0x8
	s_mul_i32 s28, s8, s7
	s_mul_hi_u32 s29, s8, s6
	s_add_i32 s28, s29, s28
	s_mul_i32 s9, s9, s6
	s_add_i32 s9, s28, s9
	s_mul_i32 s8, s8, s6
	s_lshl_b64 s[8:9], s[8:9], 2
	s_load_dword s28, s[4:5], 0x6c
	s_waitcnt lgkmcnt(0)
	s_add_u32 s26, s26, s8
	s_addc_u32 s27, s27, s9
	s_lshl_b64 s[8:9], s[18:19], 2
	s_add_u32 s26, s26, s8
	s_addc_u32 s33, s27, s9
	s_abs_i32 s27, s2
	v_cvt_f32_u32_e32 v1, s27
	s_sub_i32 s29, 0, s27
	s_and_b32 s28, s28, 0xffff
	s_lshl_b32 s30, s2, 1
	v_rcp_iflag_f32_e32 v1, v1
	s_mov_b64 s[8:9], 0
	s_sub_i32 s30, 0, s30
	s_lshl_b32 s31, s28, 1
	v_mul_f32_e32 v1, 0x4f7ffffe, v1
	v_cvt_u32_f32_e32 v2, v1
	v_lshlrev_b32_e32 v1, 1, v0
	v_mov_b32_e32 v5, s24
	v_mov_b32_e32 v6, s25
	v_mul_lo_u32 v3, s29, v2
	s_sub_i32 s29, 0, s2
	v_mul_hi_u32 v4, v2, v3
	v_mov_b32_e32 v3, s33
	v_add_u32_e32 v4, v2, v4
	v_mov_b32_e32 v2, v0
.LBB5_2:                                ; =>This Inner Loop Header: Depth=1
	v_sub_u32_e32 v8, 0, v2
	v_max_i32_e32 v8, v2, v8
	v_mul_hi_u32 v9, v8, v4
	v_ashrrev_i32_e32 v7, 31, v2
	v_xor_b32_e32 v7, s3, v7
	v_mul_lo_u32 v10, v9, s27
	v_add_u32_e32 v11, 1, v9
	v_sub_u32_e32 v8, v8, v10
	v_cmp_le_u32_e32 vcc, s27, v8
	v_subrev_u32_e32 v10, s27, v8
	v_cndmask_b32_e32 v9, v9, v11, vcc
	v_cndmask_b32_e32 v8, v8, v10, vcc
	v_add_u32_e32 v10, 1, v9
	v_cmp_le_u32_e32 vcc, s27, v8
	v_cndmask_b32_e32 v8, v9, v10, vcc
	v_xor_b32_e32 v8, v8, v7
	v_sub_u32_e32 v11, v8, v7
	v_mad_u64_u32 v[9:10], s[34:35], s29, v11, v[2:3]
	v_ashrrev_i32_e32 v13, 31, v11
	v_mul_lo_u32 v14, s13, v11
	v_mad_u64_u32 v[7:8], s[34:35], s12, v11, 0
	v_mul_lo_u32 v13, s12, v13
	v_ashrrev_i32_e32 v10, 31, v9
	v_lshlrev_b64 v[9:10], 1, v[9:10]
	v_mad_u64_u32 v[11:12], s[34:35], s30, v11, v[1:2]
	v_add3_u32 v8, v8, v13, v14
	v_add_co_u32_e32 v13, vcc, s22, v9
	v_addc_co_u32_e32 v14, vcc, v5, v10, vcc
	v_lshlrev_b64 v[7:8], 2, v[7:8]
	v_add_co_u32_e32 v9, vcc, s23, v9
	v_ashrrev_i32_e32 v12, 31, v11
	v_addc_co_u32_e32 v10, vcc, v6, v10, vcc
	v_lshlrev_b64 v[11:12], 2, v[11:12]
	v_add_co_u32_e32 v7, vcc, s26, v7
	v_addc_co_u32_e32 v8, vcc, v3, v8, vcc
	global_load_ushort v15, v[13:14], off
	global_load_ushort v16, v[9:10], off
	v_add_co_u32_e32 v7, vcc, v7, v11
	v_addc_co_u32_e32 v8, vcc, v8, v12, vcc
	global_load_dwordx2 v[9:10], v[7:8], off
	v_add_u32_e32 v2, s28, v2
	v_cmp_le_i32_e32 vcc, s14, v2
	v_add_u32_e32 v1, s31, v1
	s_or_b64 s[8:9], vcc, s[8:9]
	s_waitcnt vmcnt(2)
	v_lshlrev_b32_e32 v13, 16, v15
	s_waitcnt vmcnt(1)
	v_lshlrev_b32_e32 v11, 16, v16
	v_cndmask_b32_e64 v11, v11, -v11, s[16:17]
	s_waitcnt vmcnt(0)
	v_mul_f32_e32 v14, v10, v11
	v_mul_f32_e32 v12, v9, v11
	v_fma_f32 v11, v9, v13, -v14
	v_fmac_f32_e32 v12, v10, v13
	global_store_dwordx2 v[7:8], v[11:12], off
	s_andn2_b64 exec, exec, s[8:9]
	s_cbranch_execnz .LBB5_2
.LBB5_3:
	s_or_b64 exec, exec, s[20:21]
	s_cmp_lg_u64 s[0:1], 0
	s_cbranch_scc0 .LBB5_7
; %bb.4:
	s_mul_i32 s8, s15, s2
	v_cmp_gt_i32_e32 vcc, s8, v0
	s_and_saveexec_b64 s[14:15], vcc
	s_cbranch_execz .LBB5_7
; %bb.5:
	s_mul_i32 s7, s10, s7
	s_mul_hi_u32 s9, s10, s6
	s_add_i32 s7, s9, s7
	s_mul_i32 s9, s11, s6
	s_add_i32 s7, s7, s9
	s_mul_i32 s6, s10, s6
	s_lshl_b64 s[6:7], s[6:7], 2
	s_add_u32 s6, s0, s6
	s_addc_u32 s7, s1, s7
	s_lshl_b64 s[0:1], s[18:19], 2
	s_add_u32 s6, s6, s0
	s_addc_u32 s10, s7, s1
	s_abs_i32 s7, s2
	v_cvt_f32_u32_e32 v1, s7
	s_load_dword s4, s[4:5], 0x6c
	s_sub_i32 s5, 0, s7
	s_mov_b64 s[0:1], 0
	v_rcp_iflag_f32_e32 v1, v1
	v_mov_b32_e32 v5, s25
	s_waitcnt lgkmcnt(0)
	s_and_b32 s4, s4, 0xffff
	s_lshl_b32 s9, s4, 1
	v_mul_f32_e32 v1, 0x4f7ffffe, v1
	v_cvt_u32_f32_e32 v3, v1
	v_lshlrev_b32_e32 v1, 1, v0
	v_mul_lo_u32 v2, s5, v3
	s_sub_i32 s5, 0, s2
	s_lshl_b32 s2, s2, 1
	s_sub_i32 s2, 0, s2
	v_mul_hi_u32 v4, v3, v2
	v_mov_b32_e32 v2, s10
	v_add_u32_e32 v3, v3, v4
	v_mov_b32_e32 v4, s24
.LBB5_6:                                ; =>This Inner Loop Header: Depth=1
	v_sub_u32_e32 v7, 0, v0
	v_max_i32_e32 v7, v0, v7
	v_mul_hi_u32 v8, v7, v3
	v_ashrrev_i32_e32 v6, 31, v0
	v_xor_b32_e32 v6, s3, v6
	v_mul_lo_u32 v9, v8, s7
	v_add_u32_e32 v10, 1, v8
	v_sub_u32_e32 v7, v7, v9
	v_cmp_le_u32_e32 vcc, s7, v7
	v_subrev_u32_e32 v9, s7, v7
	v_cndmask_b32_e32 v8, v8, v10, vcc
	v_cndmask_b32_e32 v7, v7, v9, vcc
	v_add_u32_e32 v9, 1, v8
	v_cmp_le_u32_e32 vcc, s7, v7
	v_cndmask_b32_e32 v7, v8, v9, vcc
	v_xor_b32_e32 v7, v7, v6
	v_sub_u32_e32 v10, v7, v6
	v_mad_u64_u32 v[8:9], s[10:11], s5, v10, v[0:1]
	v_ashrrev_i32_e32 v12, 31, v10
	v_mul_lo_u32 v13, s13, v10
	v_mad_u64_u32 v[6:7], s[10:11], s12, v10, 0
	v_mul_lo_u32 v12, s12, v12
	v_ashrrev_i32_e32 v9, 31, v8
	v_lshlrev_b64 v[8:9], 1, v[8:9]
	v_mad_u64_u32 v[10:11], s[10:11], s2, v10, v[1:2]
	v_add3_u32 v7, v7, v12, v13
	v_add_co_u32_e32 v12, vcc, s22, v8
	v_addc_co_u32_e32 v13, vcc, v4, v9, vcc
	v_lshlrev_b64 v[6:7], 2, v[6:7]
	v_add_co_u32_e32 v8, vcc, s23, v8
	v_ashrrev_i32_e32 v11, 31, v10
	v_addc_co_u32_e32 v9, vcc, v5, v9, vcc
	v_lshlrev_b64 v[10:11], 2, v[10:11]
	v_add_co_u32_e32 v6, vcc, s6, v6
	v_addc_co_u32_e32 v7, vcc, v2, v7, vcc
	global_load_ushort v14, v[12:13], off
	global_load_ushort v15, v[8:9], off
	v_add_co_u32_e32 v6, vcc, v6, v10
	v_addc_co_u32_e32 v7, vcc, v7, v11, vcc
	global_load_dwordx2 v[8:9], v[6:7], off
	v_add_u32_e32 v0, s4, v0
	v_cmp_le_i32_e32 vcc, s8, v0
	v_add_u32_e32 v1, s9, v1
	s_or_b64 s[0:1], vcc, s[0:1]
	s_waitcnt vmcnt(2)
	v_lshlrev_b32_e32 v12, 16, v14
	s_waitcnt vmcnt(1)
	v_lshlrev_b32_e32 v10, 16, v15
	v_cndmask_b32_e64 v10, v10, -v10, s[16:17]
	s_waitcnt vmcnt(0)
	v_mul_f32_e32 v13, v9, v10
	v_mul_f32_e32 v11, v8, v10
	v_fma_f32 v10, v8, v12, -v13
	v_fmac_f32_e32 v11, v9, v12
	global_store_dwordx2 v[6:7], v[10:11], off
	s_andn2_b64 exec, exec, s[0:1]
	s_cbranch_execnz .LBB5_6
.LBB5_7:
	s_endpgm
	.section	.rodata,"a",@progbits
	.p2align	6, 0x0
	.amdhsa_kernel _ZN4vllm23rotary_embedding_kernelIfN3c108BFloat16ELb0EEEvPKlPT_S6_PKT0_illliiilb
		.amdhsa_group_segment_fixed_size 0
		.amdhsa_private_segment_fixed_size 0
		.amdhsa_kernarg_size 352
		.amdhsa_user_sgpr_count 6
		.amdhsa_user_sgpr_private_segment_buffer 1
		.amdhsa_user_sgpr_dispatch_ptr 0
		.amdhsa_user_sgpr_queue_ptr 0
		.amdhsa_user_sgpr_kernarg_segment_ptr 1
		.amdhsa_user_sgpr_dispatch_id 0
		.amdhsa_user_sgpr_flat_scratch_init 0
		.amdhsa_user_sgpr_private_segment_size 0
		.amdhsa_uses_dynamic_stack 0
		.amdhsa_system_sgpr_private_segment_wavefront_offset 0
		.amdhsa_system_sgpr_workgroup_id_x 1
		.amdhsa_system_sgpr_workgroup_id_y 0
		.amdhsa_system_sgpr_workgroup_id_z 0
		.amdhsa_system_sgpr_workgroup_info 0
		.amdhsa_system_vgpr_workitem_id 0
		.amdhsa_next_free_vgpr 17
		.amdhsa_next_free_sgpr 36
		.amdhsa_reserve_vcc 1
		.amdhsa_reserve_flat_scratch 0
		.amdhsa_float_round_mode_32 0
		.amdhsa_float_round_mode_16_64 0
		.amdhsa_float_denorm_mode_32 3
		.amdhsa_float_denorm_mode_16_64 3
		.amdhsa_dx10_clamp 1
		.amdhsa_ieee_mode 1
		.amdhsa_fp16_overflow 0
		.amdhsa_exception_fp_ieee_invalid_op 0
		.amdhsa_exception_fp_denorm_src 0
		.amdhsa_exception_fp_ieee_div_zero 0
		.amdhsa_exception_fp_ieee_overflow 0
		.amdhsa_exception_fp_ieee_underflow 0
		.amdhsa_exception_fp_ieee_inexact 0
		.amdhsa_exception_int_div_zero 0
	.end_amdhsa_kernel
	.section	.text._ZN4vllm23rotary_embedding_kernelIfN3c108BFloat16ELb0EEEvPKlPT_S6_PKT0_illliiilb,"axG",@progbits,_ZN4vllm23rotary_embedding_kernelIfN3c108BFloat16ELb0EEEvPKlPT_S6_PKT0_illliiilb,comdat
.Lfunc_end5:
	.size	_ZN4vllm23rotary_embedding_kernelIfN3c108BFloat16ELb0EEEvPKlPT_S6_PKT0_illliiilb, .Lfunc_end5-_ZN4vllm23rotary_embedding_kernelIfN3c108BFloat16ELb0EEEvPKlPT_S6_PKT0_illliiilb
                                        ; -- End function
	.set _ZN4vllm23rotary_embedding_kernelIfN3c108BFloat16ELb0EEEvPKlPT_S6_PKT0_illliiilb.num_vgpr, 17
	.set _ZN4vllm23rotary_embedding_kernelIfN3c108BFloat16ELb0EEEvPKlPT_S6_PKT0_illliiilb.num_agpr, 0
	.set _ZN4vllm23rotary_embedding_kernelIfN3c108BFloat16ELb0EEEvPKlPT_S6_PKT0_illliiilb.numbered_sgpr, 36
	.set _ZN4vllm23rotary_embedding_kernelIfN3c108BFloat16ELb0EEEvPKlPT_S6_PKT0_illliiilb.num_named_barrier, 0
	.set _ZN4vllm23rotary_embedding_kernelIfN3c108BFloat16ELb0EEEvPKlPT_S6_PKT0_illliiilb.private_seg_size, 0
	.set _ZN4vllm23rotary_embedding_kernelIfN3c108BFloat16ELb0EEEvPKlPT_S6_PKT0_illliiilb.uses_vcc, 1
	.set _ZN4vllm23rotary_embedding_kernelIfN3c108BFloat16ELb0EEEvPKlPT_S6_PKT0_illliiilb.uses_flat_scratch, 0
	.set _ZN4vllm23rotary_embedding_kernelIfN3c108BFloat16ELb0EEEvPKlPT_S6_PKT0_illliiilb.has_dyn_sized_stack, 0
	.set _ZN4vllm23rotary_embedding_kernelIfN3c108BFloat16ELb0EEEvPKlPT_S6_PKT0_illliiilb.has_recursion, 0
	.set _ZN4vllm23rotary_embedding_kernelIfN3c108BFloat16ELb0EEEvPKlPT_S6_PKT0_illliiilb.has_indirect_call, 0
	.section	.AMDGPU.csdata,"",@progbits
; Kernel info:
; codeLenInByte = 1112
; TotalNumSgprs: 40
; NumVgprs: 17
; ScratchSize: 0
; MemoryBound: 0
; FloatMode: 240
; IeeeMode: 1
; LDSByteSize: 0 bytes/workgroup (compile time only)
; SGPRBlocks: 4
; VGPRBlocks: 4
; NumSGPRsForWavesPerEU: 40
; NumVGPRsForWavesPerEU: 17
; Occupancy: 10
; WaveLimiterHint : 1
; COMPUTE_PGM_RSRC2:SCRATCH_EN: 0
; COMPUTE_PGM_RSRC2:USER_SGPR: 6
; COMPUTE_PGM_RSRC2:TRAP_HANDLER: 0
; COMPUTE_PGM_RSRC2:TGID_X_EN: 1
; COMPUTE_PGM_RSRC2:TGID_Y_EN: 0
; COMPUTE_PGM_RSRC2:TGID_Z_EN: 0
; COMPUTE_PGM_RSRC2:TIDIG_COMP_CNT: 0
	.section	.text._ZN4vllm23rotary_embedding_kernelIN3c104HalfEfLb1EEEvPKlPT_S6_PKT0_illliiilb,"axG",@progbits,_ZN4vllm23rotary_embedding_kernelIN3c104HalfEfLb1EEEvPKlPT_S6_PKT0_illliiilb,comdat
	.protected	_ZN4vllm23rotary_embedding_kernelIN3c104HalfEfLb1EEEvPKlPT_S6_PKT0_illliiilb ; -- Begin function _ZN4vllm23rotary_embedding_kernelIN3c104HalfEfLb1EEEvPKlPT_S6_PKT0_illliiilb
	.globl	_ZN4vllm23rotary_embedding_kernelIN3c104HalfEfLb1EEEvPKlPT_S6_PKT0_illliiilb
	.p2align	8
	.type	_ZN4vllm23rotary_embedding_kernelIN3c104HalfEfLb1EEEvPKlPT_S6_PKT0_illliiilb,@function
_ZN4vllm23rotary_embedding_kernelIN3c104HalfEfLb1EEEvPKlPT_S6_PKT0_illliiilb: ; @_ZN4vllm23rotary_embedding_kernelIN3c104HalfEfLb1EEEvPKlPT_S6_PKT0_illliiilb
; %bb.0:
	s_load_dword s25, s[4:5], 0x20
	s_load_dword s7, s[4:5], 0x58
	s_load_dwordx2 s[8:9], s[4:5], 0x0
	s_load_dwordx4 s[0:3], s[4:5], 0x10
	s_waitcnt lgkmcnt(0)
	s_ashr_i32 s24, s25, 31
	s_bitcmp1_b32 s7, 0
	s_cselect_b64 s[16:17], -1, 0
	s_ashr_i32 s7, s6, 31
	s_lshl_b64 s[10:11], s[6:7], 3
	s_add_u32 s20, s8, s10
	s_addc_u32 s21, s9, s11
	s_load_dwordx2 s[22:23], s[20:21], 0x0
	s_load_dwordx2 s[18:19], s[4:5], 0x50
	s_load_dwordx8 s[8:15], s[4:5], 0x28
	s_waitcnt lgkmcnt(0)
	s_mul_i32 s20, s22, s24
	s_mul_hi_u32 s21, s22, s25
	s_add_i32 s20, s21, s20
	s_mul_i32 s21, s23, s25
	s_add_i32 s21, s20, s21
	s_mul_i32 s20, s22, s25
	s_lshl_b64 s[20:21], s[20:21], 2
	s_add_u32 s24, s2, s20
	s_addc_u32 s26, s3, s21
	s_lshr_b32 s2, s25, 31
	s_add_i32 s25, s25, s2
	s_ashr_i32 s2, s25, 1
	s_ashr_i32 s3, s2, 31
	s_lshl_b64 s[20:21], s[2:3], 2
	s_add_u32 s25, s24, s20
	s_mul_i32 s14, s14, s2
	s_addc_u32 s27, s26, s21
	v_cmp_gt_i32_e32 vcc, s14, v0
	s_and_saveexec_b64 s[20:21], vcc
	s_cbranch_execz .LBB6_3
; %bb.1:
	s_load_dwordx2 s[22:23], s[4:5], 0x8
	s_load_dword s30, s[4:5], 0x6c
	s_mul_i32 s28, s8, s7
	s_mul_hi_u32 s29, s8, s6
	s_add_i32 s28, s29, s28
	s_mul_i32 s9, s9, s6
	s_add_i32 s9, s28, s9
	s_mul_i32 s8, s8, s6
	s_lshl_b64 s[8:9], s[8:9], 1
	s_waitcnt lgkmcnt(0)
	s_add_u32 s22, s22, s8
	s_addc_u32 s23, s23, s9
	s_lshl_b64 s[8:9], s[18:19], 1
	s_add_u32 s28, s22, s8
	s_addc_u32 s34, s23, s9
	s_abs_i32 s29, s2
	v_cvt_f32_u32_e32 v1, s29
	s_sub_i32 s22, 0, s29
	s_mov_b64 s[8:9], 0
	v_mov_b32_e32 v2, s26
	v_rcp_iflag_f32_e32 v1, v1
	v_mov_b32_e32 v3, s27
	s_and_b32 s30, s30, 0xffff
	s_ashr_i32 s31, s2, 31
	v_mul_f32_e32 v1, 0x4f7ffffe, v1
	v_cvt_u32_f32_e32 v1, v1
	s_sub_i32 s33, 0, s2
	v_mul_lo_u32 v4, s22, v1
	s_lshl_b64 s[22:23], s[2:3], 1
	v_mov_b32_e32 v6, s23
	v_mul_hi_u32 v5, v1, v4
	v_mov_b32_e32 v4, s34
	v_add_u32_e32 v5, v1, v5
	v_mov_b32_e32 v1, v0
.LBB6_2:                                ; =>This Inner Loop Header: Depth=1
	v_sub_u32_e32 v8, 0, v1
	v_max_i32_e32 v8, v1, v8
	v_mul_hi_u32 v9, v8, v5
	v_ashrrev_i32_e32 v7, 31, v1
	v_xor_b32_e32 v7, s31, v7
	v_mul_lo_u32 v10, v9, s29
	v_add_u32_e32 v11, 1, v9
	v_sub_u32_e32 v8, v8, v10
	v_cmp_le_u32_e32 vcc, s29, v8
	v_subrev_u32_e32 v10, s29, v8
	v_cndmask_b32_e32 v9, v9, v11, vcc
	v_cndmask_b32_e32 v8, v8, v10, vcc
	v_add_u32_e32 v10, 1, v9
	v_cmp_le_u32_e32 vcc, s29, v8
	v_cndmask_b32_e32 v8, v9, v10, vcc
	v_xor_b32_e32 v8, v8, v7
	v_sub_u32_e32 v9, v8, v7
	v_ashrrev_i32_e32 v11, 31, v9
	v_mul_lo_u32 v12, s13, v9
	v_mad_u64_u32 v[7:8], s[34:35], s12, v9, 0
	v_mad_u64_u32 v[9:10], s[34:35], s33, v9, v[1:2]
	v_mul_lo_u32 v11, s12, v11
	v_add_u32_e32 v1, s30, v1
	v_ashrrev_i32_e32 v10, 31, v9
	v_add3_u32 v8, v8, v11, v12
	v_lshlrev_b64 v[11:12], 2, v[9:10]
	v_lshlrev_b64 v[7:8], 1, v[7:8]
	v_add_co_u32_e32 v13, vcc, s24, v11
	v_addc_co_u32_e32 v14, vcc, v2, v12, vcc
	v_add_co_u32_e32 v11, vcc, s25, v11
	v_addc_co_u32_e32 v12, vcc, v3, v12, vcc
	v_lshlrev_b64 v[9:10], 1, v[9:10]
	v_add_co_u32_e32 v7, vcc, s28, v7
	v_addc_co_u32_e32 v8, vcc, v4, v8, vcc
	v_add_co_u32_e32 v7, vcc, v7, v9
	v_addc_co_u32_e32 v8, vcc, v8, v10, vcc
	v_add_co_u32_e32 v9, vcc, s22, v7
	v_addc_co_u32_e32 v10, vcc, v8, v6, vcc
	global_load_ushort v15, v[7:8], off
	global_load_ushort v16, v[9:10], off
	global_load_dword v17, v[11:12], off
	global_load_dword v18, v[13:14], off
	v_cmp_le_i32_e32 vcc, s14, v1
	s_or_b64 s[8:9], vcc, s[8:9]
	s_waitcnt vmcnt(2)
	v_cvt_f32_f16_e32 v12, v16
	s_waitcnt vmcnt(1)
	v_cndmask_b32_e64 v11, v17, -v17, s[16:17]
	v_mul_f32_e32 v13, v11, v12
	s_waitcnt vmcnt(0)
	v_mul_f32_e32 v12, v18, v12
	v_fma_mixlo_f16 v13, v18, v15, -v13 op_sel_hi:[0,1,0]
	v_fma_mixlo_f16 v11, v11, v15, v12 op_sel_hi:[0,1,0]
	global_store_short v[7:8], v13, off
	global_store_short v[9:10], v11, off
	s_andn2_b64 exec, exec, s[8:9]
	s_cbranch_execnz .LBB6_2
.LBB6_3:
	s_or_b64 exec, exec, s[20:21]
	s_cmp_lg_u64 s[0:1], 0
	s_cbranch_scc0 .LBB6_7
; %bb.4:
	s_mul_i32 s8, s15, s2
	v_cmp_gt_i32_e32 vcc, s8, v0
	s_and_saveexec_b64 s[14:15], vcc
	s_cbranch_execz .LBB6_7
; %bb.5:
	s_mul_i32 s7, s10, s7
	s_mul_hi_u32 s9, s10, s6
	s_add_i32 s7, s9, s7
	s_mul_i32 s9, s11, s6
	s_add_i32 s7, s7, s9
	s_mul_i32 s6, s10, s6
	s_lshl_b64 s[6:7], s[6:7], 1
	s_add_u32 s6, s0, s6
	s_addc_u32 s7, s1, s7
	s_lshl_b64 s[0:1], s[18:19], 1
	s_add_u32 s6, s6, s0
	s_addc_u32 s10, s7, s1
	s_abs_i32 s7, s2
	v_cvt_f32_u32_e32 v1, s7
	s_load_dword s4, s[4:5], 0x6c
	s_sub_i32 s5, 0, s7
	s_sub_i32 s9, 0, s2
	v_rcp_iflag_f32_e32 v1, v1
	s_mov_b64 s[0:1], 0
	v_mov_b32_e32 v2, s27
	s_waitcnt lgkmcnt(0)
	s_and_b32 s4, s4, 0xffff
	v_mul_f32_e32 v1, 0x4f7ffffe, v1
	v_cvt_u32_f32_e32 v4, v1
	v_mov_b32_e32 v1, s26
	v_mul_lo_u32 v3, s5, v4
	s_ashr_i32 s5, s2, 31
	s_lshl_b64 s[2:3], s[2:3], 1
	v_mul_hi_u32 v5, v4, v3
	v_mov_b32_e32 v3, s10
	v_add_u32_e32 v4, v4, v5
	v_mov_b32_e32 v5, s3
.LBB6_6:                                ; =>This Inner Loop Header: Depth=1
	v_sub_u32_e32 v7, 0, v0
	v_max_i32_e32 v7, v0, v7
	v_mul_hi_u32 v8, v7, v4
	v_ashrrev_i32_e32 v6, 31, v0
	v_xor_b32_e32 v6, s5, v6
	v_mul_lo_u32 v9, v8, s7
	v_add_u32_e32 v10, 1, v8
	v_sub_u32_e32 v7, v7, v9
	v_cmp_le_u32_e32 vcc, s7, v7
	v_subrev_u32_e32 v9, s7, v7
	v_cndmask_b32_e32 v8, v8, v10, vcc
	v_cndmask_b32_e32 v7, v7, v9, vcc
	v_add_u32_e32 v9, 1, v8
	v_cmp_le_u32_e32 vcc, s7, v7
	v_cndmask_b32_e32 v7, v8, v9, vcc
	v_xor_b32_e32 v7, v7, v6
	v_sub_u32_e32 v8, v7, v6
	v_ashrrev_i32_e32 v10, 31, v8
	v_mul_lo_u32 v11, s13, v8
	v_mad_u64_u32 v[6:7], s[10:11], s12, v8, 0
	v_mad_u64_u32 v[8:9], s[10:11], s9, v8, v[0:1]
	v_mul_lo_u32 v10, s12, v10
	v_add_u32_e32 v0, s4, v0
	v_ashrrev_i32_e32 v9, 31, v8
	v_add3_u32 v7, v7, v10, v11
	v_lshlrev_b64 v[10:11], 2, v[8:9]
	v_lshlrev_b64 v[6:7], 1, v[6:7]
	v_add_co_u32_e32 v12, vcc, s24, v10
	v_addc_co_u32_e32 v13, vcc, v1, v11, vcc
	v_add_co_u32_e32 v10, vcc, s25, v10
	v_addc_co_u32_e32 v11, vcc, v2, v11, vcc
	v_lshlrev_b64 v[8:9], 1, v[8:9]
	v_add_co_u32_e32 v6, vcc, s6, v6
	v_addc_co_u32_e32 v7, vcc, v3, v7, vcc
	v_add_co_u32_e32 v6, vcc, v6, v8
	v_addc_co_u32_e32 v7, vcc, v7, v9, vcc
	;; [unrolled: 2-line block ×3, first 2 shown]
	global_load_ushort v14, v[6:7], off
	global_load_ushort v15, v[8:9], off
	global_load_dword v16, v[10:11], off
	global_load_dword v17, v[12:13], off
	v_cmp_le_i32_e32 vcc, s8, v0
	s_or_b64 s[0:1], vcc, s[0:1]
	s_waitcnt vmcnt(2)
	v_cvt_f32_f16_e32 v11, v15
	s_waitcnt vmcnt(1)
	v_cndmask_b32_e64 v10, v16, -v16, s[16:17]
	v_mul_f32_e32 v12, v10, v11
	s_waitcnt vmcnt(0)
	v_mul_f32_e32 v11, v17, v11
	v_fma_mixlo_f16 v12, v17, v14, -v12 op_sel_hi:[0,1,0]
	v_fma_mixlo_f16 v10, v10, v14, v11 op_sel_hi:[0,1,0]
	global_store_short v[6:7], v12, off
	global_store_short v[8:9], v10, off
	s_andn2_b64 exec, exec, s[0:1]
	s_cbranch_execnz .LBB6_6
.LBB6_7:
	s_endpgm
	.section	.rodata,"a",@progbits
	.p2align	6, 0x0
	.amdhsa_kernel _ZN4vllm23rotary_embedding_kernelIN3c104HalfEfLb1EEEvPKlPT_S6_PKT0_illliiilb
		.amdhsa_group_segment_fixed_size 0
		.amdhsa_private_segment_fixed_size 0
		.amdhsa_kernarg_size 352
		.amdhsa_user_sgpr_count 6
		.amdhsa_user_sgpr_private_segment_buffer 1
		.amdhsa_user_sgpr_dispatch_ptr 0
		.amdhsa_user_sgpr_queue_ptr 0
		.amdhsa_user_sgpr_kernarg_segment_ptr 1
		.amdhsa_user_sgpr_dispatch_id 0
		.amdhsa_user_sgpr_flat_scratch_init 0
		.amdhsa_user_sgpr_private_segment_size 0
		.amdhsa_uses_dynamic_stack 0
		.amdhsa_system_sgpr_private_segment_wavefront_offset 0
		.amdhsa_system_sgpr_workgroup_id_x 1
		.amdhsa_system_sgpr_workgroup_id_y 0
		.amdhsa_system_sgpr_workgroup_id_z 0
		.amdhsa_system_sgpr_workgroup_info 0
		.amdhsa_system_vgpr_workitem_id 0
		.amdhsa_next_free_vgpr 19
		.amdhsa_next_free_sgpr 36
		.amdhsa_reserve_vcc 1
		.amdhsa_reserve_flat_scratch 0
		.amdhsa_float_round_mode_32 0
		.amdhsa_float_round_mode_16_64 0
		.amdhsa_float_denorm_mode_32 3
		.amdhsa_float_denorm_mode_16_64 3
		.amdhsa_dx10_clamp 1
		.amdhsa_ieee_mode 1
		.amdhsa_fp16_overflow 0
		.amdhsa_exception_fp_ieee_invalid_op 0
		.amdhsa_exception_fp_denorm_src 0
		.amdhsa_exception_fp_ieee_div_zero 0
		.amdhsa_exception_fp_ieee_overflow 0
		.amdhsa_exception_fp_ieee_underflow 0
		.amdhsa_exception_fp_ieee_inexact 0
		.amdhsa_exception_int_div_zero 0
	.end_amdhsa_kernel
	.section	.text._ZN4vllm23rotary_embedding_kernelIN3c104HalfEfLb1EEEvPKlPT_S6_PKT0_illliiilb,"axG",@progbits,_ZN4vllm23rotary_embedding_kernelIN3c104HalfEfLb1EEEvPKlPT_S6_PKT0_illliiilb,comdat
.Lfunc_end6:
	.size	_ZN4vllm23rotary_embedding_kernelIN3c104HalfEfLb1EEEvPKlPT_S6_PKT0_illliiilb, .Lfunc_end6-_ZN4vllm23rotary_embedding_kernelIN3c104HalfEfLb1EEEvPKlPT_S6_PKT0_illliiilb
                                        ; -- End function
	.set _ZN4vllm23rotary_embedding_kernelIN3c104HalfEfLb1EEEvPKlPT_S6_PKT0_illliiilb.num_vgpr, 19
	.set _ZN4vllm23rotary_embedding_kernelIN3c104HalfEfLb1EEEvPKlPT_S6_PKT0_illliiilb.num_agpr, 0
	.set _ZN4vllm23rotary_embedding_kernelIN3c104HalfEfLb1EEEvPKlPT_S6_PKT0_illliiilb.numbered_sgpr, 36
	.set _ZN4vllm23rotary_embedding_kernelIN3c104HalfEfLb1EEEvPKlPT_S6_PKT0_illliiilb.num_named_barrier, 0
	.set _ZN4vllm23rotary_embedding_kernelIN3c104HalfEfLb1EEEvPKlPT_S6_PKT0_illliiilb.private_seg_size, 0
	.set _ZN4vllm23rotary_embedding_kernelIN3c104HalfEfLb1EEEvPKlPT_S6_PKT0_illliiilb.uses_vcc, 1
	.set _ZN4vllm23rotary_embedding_kernelIN3c104HalfEfLb1EEEvPKlPT_S6_PKT0_illliiilb.uses_flat_scratch, 0
	.set _ZN4vllm23rotary_embedding_kernelIN3c104HalfEfLb1EEEvPKlPT_S6_PKT0_illliiilb.has_dyn_sized_stack, 0
	.set _ZN4vllm23rotary_embedding_kernelIN3c104HalfEfLb1EEEvPKlPT_S6_PKT0_illliiilb.has_recursion, 0
	.set _ZN4vllm23rotary_embedding_kernelIN3c104HalfEfLb1EEEvPKlPT_S6_PKT0_illliiilb.has_indirect_call, 0
	.section	.AMDGPU.csdata,"",@progbits
; Kernel info:
; codeLenInByte = 1120
; TotalNumSgprs: 40
; NumVgprs: 19
; ScratchSize: 0
; MemoryBound: 0
; FloatMode: 240
; IeeeMode: 1
; LDSByteSize: 0 bytes/workgroup (compile time only)
; SGPRBlocks: 4
; VGPRBlocks: 4
; NumSGPRsForWavesPerEU: 40
; NumVGPRsForWavesPerEU: 19
; Occupancy: 10
; WaveLimiterHint : 1
; COMPUTE_PGM_RSRC2:SCRATCH_EN: 0
; COMPUTE_PGM_RSRC2:USER_SGPR: 6
; COMPUTE_PGM_RSRC2:TRAP_HANDLER: 0
; COMPUTE_PGM_RSRC2:TGID_X_EN: 1
; COMPUTE_PGM_RSRC2:TGID_Y_EN: 0
; COMPUTE_PGM_RSRC2:TGID_Z_EN: 0
; COMPUTE_PGM_RSRC2:TIDIG_COMP_CNT: 0
	.section	.text._ZN4vllm23rotary_embedding_kernelIN3c104HalfEfLb0EEEvPKlPT_S6_PKT0_illliiilb,"axG",@progbits,_ZN4vllm23rotary_embedding_kernelIN3c104HalfEfLb0EEEvPKlPT_S6_PKT0_illliiilb,comdat
	.protected	_ZN4vllm23rotary_embedding_kernelIN3c104HalfEfLb0EEEvPKlPT_S6_PKT0_illliiilb ; -- Begin function _ZN4vllm23rotary_embedding_kernelIN3c104HalfEfLb0EEEvPKlPT_S6_PKT0_illliiilb
	.globl	_ZN4vllm23rotary_embedding_kernelIN3c104HalfEfLb0EEEvPKlPT_S6_PKT0_illliiilb
	.p2align	8
	.type	_ZN4vllm23rotary_embedding_kernelIN3c104HalfEfLb0EEEvPKlPT_S6_PKT0_illliiilb,@function
_ZN4vllm23rotary_embedding_kernelIN3c104HalfEfLb0EEEvPKlPT_S6_PKT0_illliiilb: ; @_ZN4vllm23rotary_embedding_kernelIN3c104HalfEfLb0EEEvPKlPT_S6_PKT0_illliiilb
; %bb.0:
	s_load_dword s25, s[4:5], 0x20
	s_load_dword s2, s[4:5], 0x58
	s_load_dwordx2 s[0:1], s[4:5], 0x0
	s_load_dwordx4 s[16:19], s[4:5], 0x10
	s_waitcnt lgkmcnt(0)
	s_ashr_i32 s24, s25, 31
	s_bitcmp1_b32 s2, 0
	s_cselect_b64 s[2:3], -1, 0
	s_ashr_i32 s7, s6, 31
	s_lshl_b64 s[8:9], s[6:7], 3
	s_add_u32 s0, s0, s8
	s_addc_u32 s1, s1, s9
	s_load_dwordx2 s[22:23], s[0:1], 0x0
	s_load_dwordx2 s[20:21], s[4:5], 0x50
	s_load_dwordx8 s[8:15], s[4:5], 0x28
	s_waitcnt lgkmcnt(0)
	s_mul_i32 s0, s22, s24
	s_mul_hi_u32 s1, s22, s25
	s_add_i32 s0, s1, s0
	s_mul_i32 s1, s23, s25
	s_add_i32 s1, s0, s1
	s_mul_i32 s0, s22, s25
	s_lshl_b64 s[0:1], s[0:1], 2
	s_add_u32 s24, s18, s0
	s_addc_u32 s26, s19, s1
	s_lshr_b32 s0, s25, 31
	s_add_i32 s25, s25, s0
	s_ashr_i32 s18, s25, 1
	s_ashr_i32 s19, s18, 31
	s_lshl_b64 s[0:1], s[18:19], 2
	s_add_u32 s25, s24, s0
	s_mul_i32 s14, s14, s18
	s_addc_u32 s27, s26, s1
	v_cmp_gt_i32_e32 vcc, s14, v0
	s_and_saveexec_b64 s[22:23], vcc
	s_cbranch_execz .LBB7_3
; %bb.1:
	s_load_dwordx2 s[0:1], s[4:5], 0x8
	s_load_dword s30, s[4:5], 0x6c
	s_mul_i32 s28, s8, s7
	s_mul_hi_u32 s29, s8, s6
	s_add_i32 s28, s29, s28
	s_mul_i32 s9, s9, s6
	s_add_i32 s9, s28, s9
	s_mul_i32 s8, s8, s6
	s_lshl_b64 s[8:9], s[8:9], 1
	s_waitcnt lgkmcnt(0)
	s_add_u32 s8, s0, s8
	s_addc_u32 s9, s1, s9
	s_lshl_b64 s[0:1], s[20:21], 1
	s_add_u32 s28, s8, s0
	s_addc_u32 s0, s9, s1
	s_abs_i32 s29, s18
	v_cvt_f32_u32_e32 v1, s29
	s_sub_i32 s1, 0, s29
	s_and_b32 s30, s30, 0xffff
	s_mov_b64 s[8:9], 0
	v_rcp_iflag_f32_e32 v1, v1
	s_sub_i32 s31, 0, s18
	s_lshl_b32 s34, s30, 1
	v_mov_b32_e32 v5, s26
	v_mul_f32_e32 v1, 0x4f7ffffe, v1
	v_cvt_u32_f32_e32 v2, v1
	v_lshlrev_b32_e32 v1, 1, v0
	v_mov_b32_e32 v6, s27
	v_mul_lo_u32 v3, s1, v2
	s_lshl_b32 s1, s18, 1
	s_sub_i32 s33, 0, s1
	v_mul_hi_u32 v4, v2, v3
	v_mov_b32_e32 v3, s0
	v_add_u32_e32 v4, v2, v4
	v_mov_b32_e32 v2, v0
.LBB7_2:                                ; =>This Inner Loop Header: Depth=1
	v_sub_u32_e32 v8, 0, v2
	v_max_i32_e32 v8, v2, v8
	v_mul_hi_u32 v9, v8, v4
	v_ashrrev_i32_e32 v7, 31, v2
	v_xor_b32_e32 v7, s19, v7
	v_mul_lo_u32 v10, v9, s29
	v_add_u32_e32 v11, 1, v9
	v_sub_u32_e32 v8, v8, v10
	v_cmp_le_u32_e32 vcc, s29, v8
	v_subrev_u32_e32 v10, s29, v8
	v_cndmask_b32_e32 v9, v9, v11, vcc
	v_cndmask_b32_e32 v8, v8, v10, vcc
	v_add_u32_e32 v10, 1, v9
	v_cmp_le_u32_e32 vcc, s29, v8
	v_cndmask_b32_e32 v8, v9, v10, vcc
	v_xor_b32_e32 v8, v8, v7
	v_sub_u32_e32 v11, v8, v7
	v_ashrrev_i32_e32 v13, 31, v11
	v_mul_lo_u32 v14, s13, v11
	v_mad_u64_u32 v[7:8], s[0:1], s12, v11, 0
	v_mul_lo_u32 v13, s12, v13
	v_mad_u64_u32 v[9:10], s[0:1], s31, v11, v[2:3]
	v_mad_u64_u32 v[11:12], s[0:1], s33, v11, v[1:2]
	v_add3_u32 v8, v8, v13, v14
	v_lshlrev_b64 v[7:8], 1, v[7:8]
	v_ashrrev_i32_e32 v12, 31, v11
	v_lshlrev_b64 v[11:12], 1, v[11:12]
	v_add_co_u32_e64 v7, s[0:1], s28, v7
	v_ashrrev_i32_e32 v10, 31, v9
	v_addc_co_u32_e64 v8, s[0:1], v3, v8, s[0:1]
	v_lshlrev_b64 v[9:10], 2, v[9:10]
	v_add_co_u32_e64 v7, s[0:1], v7, v11
	v_addc_co_u32_e64 v8, s[0:1], v8, v12, s[0:1]
	v_add_co_u32_e32 v13, vcc, s24, v9
	global_load_dword v11, v[7:8], off
	v_addc_co_u32_e32 v14, vcc, v5, v10, vcc
	v_add_co_u32_e32 v9, vcc, s25, v9
	v_addc_co_u32_e32 v10, vcc, v6, v10, vcc
	global_load_dword v12, v[9:10], off
	global_load_dword v15, v[13:14], off
	v_add_u32_e32 v2, s30, v2
	v_cmp_le_i32_e32 vcc, s14, v2
	v_add_u32_e32 v1, s34, v1
	s_or_b64 s[8:9], vcc, s[8:9]
	s_waitcnt vmcnt(2)
	v_cvt_f32_f16_sdwa v9, v11 dst_sel:DWORD dst_unused:UNUSED_PAD src0_sel:WORD_1
	s_waitcnt vmcnt(1)
	v_cndmask_b32_e64 v10, v12, -v12, s[2:3]
	v_mul_f32_e32 v12, v10, v9
	s_waitcnt vmcnt(0)
	v_mul_f32_e32 v9, v15, v9
	v_fma_mixlo_f16 v12, v15, v11, -v12 op_sel_hi:[0,1,0]
	v_fma_mixhi_f16 v12, v10, v11, v9 op_sel_hi:[0,1,0]
	global_store_dword v[7:8], v12, off
	s_andn2_b64 exec, exec, s[8:9]
	s_cbranch_execnz .LBB7_2
.LBB7_3:
	s_or_b64 exec, exec, s[22:23]
	s_cmp_lg_u64 s[16:17], 0
	s_cbranch_scc0 .LBB7_7
; %bb.4:
	s_mul_i32 s8, s15, s18
	v_cmp_gt_i32_e32 vcc, s8, v0
	s_and_saveexec_b64 s[0:1], vcc
	s_cbranch_execz .LBB7_7
; %bb.5:
	s_mul_i32 s0, s10, s7
	s_mul_hi_u32 s1, s10, s6
	s_add_i32 s0, s1, s0
	s_mul_i32 s1, s11, s6
	s_add_i32 s1, s0, s1
	s_mul_i32 s0, s10, s6
	s_lshl_b64 s[0:1], s[0:1], 1
	s_add_u32 s6, s16, s0
	s_addc_u32 s7, s17, s1
	s_lshl_b64 s[0:1], s[20:21], 1
	s_add_u32 s6, s6, s0
	s_addc_u32 s0, s7, s1
	s_abs_i32 s7, s18
	v_cvt_f32_u32_e32 v1, s7
	s_sub_i32 s9, 0, s7
	s_load_dword s1, s[4:5], 0x6c
	s_mov_b64 s[4:5], 0
	v_rcp_iflag_f32_e32 v1, v1
	s_sub_i32 s10, 0, s18
	v_mov_b32_e32 v5, s27
	v_mul_f32_e32 v1, 0x4f7ffffe, v1
	v_cvt_u32_f32_e32 v3, v1
	v_lshlrev_b32_e32 v1, 1, v0
	v_mul_lo_u32 v2, s9, v3
	s_waitcnt lgkmcnt(0)
	s_and_b32 s9, s1, 0xffff
	s_lshl_b32 s1, s18, 1
	s_sub_i32 s11, 0, s1
	v_mul_hi_u32 v4, v3, v2
	s_lshl_b32 s14, s9, 1
	v_mov_b32_e32 v2, s0
	v_add_u32_e32 v3, v3, v4
	v_mov_b32_e32 v4, s26
.LBB7_6:                                ; =>This Inner Loop Header: Depth=1
	v_sub_u32_e32 v7, 0, v0
	v_max_i32_e32 v7, v0, v7
	v_mul_hi_u32 v8, v7, v3
	v_ashrrev_i32_e32 v6, 31, v0
	v_xor_b32_e32 v6, s19, v6
	v_mul_lo_u32 v9, v8, s7
	v_add_u32_e32 v10, 1, v8
	v_sub_u32_e32 v7, v7, v9
	v_cmp_le_u32_e32 vcc, s7, v7
	v_subrev_u32_e32 v9, s7, v7
	v_cndmask_b32_e32 v8, v8, v10, vcc
	v_cndmask_b32_e32 v7, v7, v9, vcc
	v_add_u32_e32 v9, 1, v8
	v_cmp_le_u32_e32 vcc, s7, v7
	v_cndmask_b32_e32 v7, v8, v9, vcc
	v_xor_b32_e32 v7, v7, v6
	v_sub_u32_e32 v10, v7, v6
	v_ashrrev_i32_e32 v12, 31, v10
	v_mul_lo_u32 v13, s13, v10
	v_mad_u64_u32 v[6:7], s[0:1], s12, v10, 0
	v_mul_lo_u32 v12, s12, v12
	v_mad_u64_u32 v[8:9], s[0:1], s10, v10, v[0:1]
	v_mad_u64_u32 v[10:11], s[0:1], s11, v10, v[1:2]
	v_add3_u32 v7, v7, v12, v13
	v_lshlrev_b64 v[6:7], 1, v[6:7]
	v_ashrrev_i32_e32 v11, 31, v10
	v_lshlrev_b64 v[10:11], 1, v[10:11]
	v_add_co_u32_e64 v6, s[0:1], s6, v6
	v_ashrrev_i32_e32 v9, 31, v8
	v_addc_co_u32_e64 v7, s[0:1], v2, v7, s[0:1]
	v_lshlrev_b64 v[8:9], 2, v[8:9]
	v_add_co_u32_e64 v6, s[0:1], v6, v10
	v_addc_co_u32_e64 v7, s[0:1], v7, v11, s[0:1]
	v_add_co_u32_e32 v12, vcc, s24, v8
	global_load_dword v10, v[6:7], off
	v_addc_co_u32_e32 v13, vcc, v4, v9, vcc
	v_add_co_u32_e32 v8, vcc, s25, v8
	v_addc_co_u32_e32 v9, vcc, v5, v9, vcc
	global_load_dword v11, v[8:9], off
	global_load_dword v14, v[12:13], off
	v_add_u32_e32 v0, s9, v0
	v_cmp_le_i32_e32 vcc, s8, v0
	v_add_u32_e32 v1, s14, v1
	s_or_b64 s[4:5], vcc, s[4:5]
	s_waitcnt vmcnt(2)
	v_cvt_f32_f16_sdwa v8, v10 dst_sel:DWORD dst_unused:UNUSED_PAD src0_sel:WORD_1
	s_waitcnt vmcnt(1)
	v_cndmask_b32_e64 v9, v11, -v11, s[2:3]
	v_mul_f32_e32 v11, v9, v8
	s_waitcnt vmcnt(0)
	v_mul_f32_e32 v8, v14, v8
	v_fma_mixlo_f16 v11, v14, v10, -v11 op_sel_hi:[0,1,0]
	v_fma_mixhi_f16 v11, v9, v10, v8 op_sel_hi:[0,1,0]
	global_store_dword v[6:7], v11, off
	s_andn2_b64 exec, exec, s[4:5]
	s_cbranch_execnz .LBB7_6
.LBB7_7:
	s_endpgm
	.section	.rodata,"a",@progbits
	.p2align	6, 0x0
	.amdhsa_kernel _ZN4vllm23rotary_embedding_kernelIN3c104HalfEfLb0EEEvPKlPT_S6_PKT0_illliiilb
		.amdhsa_group_segment_fixed_size 0
		.amdhsa_private_segment_fixed_size 0
		.amdhsa_kernarg_size 352
		.amdhsa_user_sgpr_count 6
		.amdhsa_user_sgpr_private_segment_buffer 1
		.amdhsa_user_sgpr_dispatch_ptr 0
		.amdhsa_user_sgpr_queue_ptr 0
		.amdhsa_user_sgpr_kernarg_segment_ptr 1
		.amdhsa_user_sgpr_dispatch_id 0
		.amdhsa_user_sgpr_flat_scratch_init 0
		.amdhsa_user_sgpr_private_segment_size 0
		.amdhsa_uses_dynamic_stack 0
		.amdhsa_system_sgpr_private_segment_wavefront_offset 0
		.amdhsa_system_sgpr_workgroup_id_x 1
		.amdhsa_system_sgpr_workgroup_id_y 0
		.amdhsa_system_sgpr_workgroup_id_z 0
		.amdhsa_system_sgpr_workgroup_info 0
		.amdhsa_system_vgpr_workitem_id 0
		.amdhsa_next_free_vgpr 16
		.amdhsa_next_free_sgpr 35
		.amdhsa_reserve_vcc 1
		.amdhsa_reserve_flat_scratch 0
		.amdhsa_float_round_mode_32 0
		.amdhsa_float_round_mode_16_64 0
		.amdhsa_float_denorm_mode_32 3
		.amdhsa_float_denorm_mode_16_64 3
		.amdhsa_dx10_clamp 1
		.amdhsa_ieee_mode 1
		.amdhsa_fp16_overflow 0
		.amdhsa_exception_fp_ieee_invalid_op 0
		.amdhsa_exception_fp_denorm_src 0
		.amdhsa_exception_fp_ieee_div_zero 0
		.amdhsa_exception_fp_ieee_overflow 0
		.amdhsa_exception_fp_ieee_underflow 0
		.amdhsa_exception_fp_ieee_inexact 0
		.amdhsa_exception_int_div_zero 0
	.end_amdhsa_kernel
	.section	.text._ZN4vllm23rotary_embedding_kernelIN3c104HalfEfLb0EEEvPKlPT_S6_PKT0_illliiilb,"axG",@progbits,_ZN4vllm23rotary_embedding_kernelIN3c104HalfEfLb0EEEvPKlPT_S6_PKT0_illliiilb,comdat
.Lfunc_end7:
	.size	_ZN4vllm23rotary_embedding_kernelIN3c104HalfEfLb0EEEvPKlPT_S6_PKT0_illliiilb, .Lfunc_end7-_ZN4vllm23rotary_embedding_kernelIN3c104HalfEfLb0EEEvPKlPT_S6_PKT0_illliiilb
                                        ; -- End function
	.set _ZN4vllm23rotary_embedding_kernelIN3c104HalfEfLb0EEEvPKlPT_S6_PKT0_illliiilb.num_vgpr, 16
	.set _ZN4vllm23rotary_embedding_kernelIN3c104HalfEfLb0EEEvPKlPT_S6_PKT0_illliiilb.num_agpr, 0
	.set _ZN4vllm23rotary_embedding_kernelIN3c104HalfEfLb0EEEvPKlPT_S6_PKT0_illliiilb.numbered_sgpr, 35
	.set _ZN4vllm23rotary_embedding_kernelIN3c104HalfEfLb0EEEvPKlPT_S6_PKT0_illliiilb.num_named_barrier, 0
	.set _ZN4vllm23rotary_embedding_kernelIN3c104HalfEfLb0EEEvPKlPT_S6_PKT0_illliiilb.private_seg_size, 0
	.set _ZN4vllm23rotary_embedding_kernelIN3c104HalfEfLb0EEEvPKlPT_S6_PKT0_illliiilb.uses_vcc, 1
	.set _ZN4vllm23rotary_embedding_kernelIN3c104HalfEfLb0EEEvPKlPT_S6_PKT0_illliiilb.uses_flat_scratch, 0
	.set _ZN4vllm23rotary_embedding_kernelIN3c104HalfEfLb0EEEvPKlPT_S6_PKT0_illliiilb.has_dyn_sized_stack, 0
	.set _ZN4vllm23rotary_embedding_kernelIN3c104HalfEfLb0EEEvPKlPT_S6_PKT0_illliiilb.has_recursion, 0
	.set _ZN4vllm23rotary_embedding_kernelIN3c104HalfEfLb0EEEvPKlPT_S6_PKT0_illliiilb.has_indirect_call, 0
	.section	.AMDGPU.csdata,"",@progbits
; Kernel info:
; codeLenInByte = 1152
; TotalNumSgprs: 39
; NumVgprs: 16
; ScratchSize: 0
; MemoryBound: 0
; FloatMode: 240
; IeeeMode: 1
; LDSByteSize: 0 bytes/workgroup (compile time only)
; SGPRBlocks: 4
; VGPRBlocks: 3
; NumSGPRsForWavesPerEU: 39
; NumVGPRsForWavesPerEU: 16
; Occupancy: 10
; WaveLimiterHint : 1
; COMPUTE_PGM_RSRC2:SCRATCH_EN: 0
; COMPUTE_PGM_RSRC2:USER_SGPR: 6
; COMPUTE_PGM_RSRC2:TRAP_HANDLER: 0
; COMPUTE_PGM_RSRC2:TGID_X_EN: 1
; COMPUTE_PGM_RSRC2:TGID_Y_EN: 0
; COMPUTE_PGM_RSRC2:TGID_Z_EN: 0
; COMPUTE_PGM_RSRC2:TIDIG_COMP_CNT: 0
	.section	.text._ZN4vllm23rotary_embedding_kernelIN3c104HalfES2_Lb1EEEvPKlPT_S6_PKT0_illliiilb,"axG",@progbits,_ZN4vllm23rotary_embedding_kernelIN3c104HalfES2_Lb1EEEvPKlPT_S6_PKT0_illliiilb,comdat
	.protected	_ZN4vllm23rotary_embedding_kernelIN3c104HalfES2_Lb1EEEvPKlPT_S6_PKT0_illliiilb ; -- Begin function _ZN4vllm23rotary_embedding_kernelIN3c104HalfES2_Lb1EEEvPKlPT_S6_PKT0_illliiilb
	.globl	_ZN4vllm23rotary_embedding_kernelIN3c104HalfES2_Lb1EEEvPKlPT_S6_PKT0_illliiilb
	.p2align	8
	.type	_ZN4vllm23rotary_embedding_kernelIN3c104HalfES2_Lb1EEEvPKlPT_S6_PKT0_illliiilb,@function
_ZN4vllm23rotary_embedding_kernelIN3c104HalfES2_Lb1EEEvPKlPT_S6_PKT0_illliiilb: ; @_ZN4vllm23rotary_embedding_kernelIN3c104HalfES2_Lb1EEEvPKlPT_S6_PKT0_illliiilb
; %bb.0:
	s_load_dword s26, s[4:5], 0x20
	s_load_dword s7, s[4:5], 0x58
	s_load_dwordx2 s[8:9], s[4:5], 0x0
	s_load_dwordx4 s[0:3], s[4:5], 0x10
	s_waitcnt lgkmcnt(0)
	s_ashr_i32 s24, s26, 31
	s_bitcmp1_b32 s7, 0
	s_cselect_b64 s[16:17], -1, 0
	s_ashr_i32 s7, s6, 31
	s_lshl_b64 s[10:11], s[6:7], 3
	s_add_u32 s18, s8, s10
	s_addc_u32 s19, s9, s11
	s_load_dwordx2 s[22:23], s[18:19], 0x0
	s_load_dwordx2 s[20:21], s[4:5], 0x50
	s_load_dwordx8 s[8:15], s[4:5], 0x28
	s_waitcnt lgkmcnt(0)
	s_mul_i32 s18, s22, s24
	s_mul_hi_u32 s19, s22, s26
	s_add_i32 s18, s19, s18
	s_mul_i32 s19, s23, s26
	s_add_i32 s19, s18, s19
	s_mul_i32 s18, s22, s26
	s_lshl_b64 s[18:19], s[18:19], 1
	s_add_u32 s24, s2, s18
	s_addc_u32 s25, s3, s19
	s_lshr_b32 s2, s26, 31
	s_add_i32 s26, s26, s2
	s_ashr_i32 s18, s26, 1
	s_ashr_i32 s19, s18, 31
	s_lshl_b64 s[2:3], s[18:19], 1
	s_add_u32 s19, s24, s2
	s_mul_i32 s14, s14, s18
	s_addc_u32 s26, s25, s3
	v_cmp_gt_i32_e32 vcc, s14, v0
	s_and_saveexec_b64 s[22:23], vcc
	s_cbranch_execz .LBB8_3
; %bb.1:
	s_load_dwordx2 s[28:29], s[4:5], 0x8
	s_mul_i32 s27, s8, s7
	s_mul_hi_u32 s30, s8, s6
	s_add_i32 s27, s30, s27
	s_mul_i32 s9, s9, s6
	s_add_i32 s9, s27, s9
	s_mul_i32 s8, s8, s6
	s_lshl_b64 s[8:9], s[8:9], 1
	s_load_dword s30, s[4:5], 0x6c
	s_waitcnt lgkmcnt(0)
	s_add_u32 s27, s28, s8
	s_addc_u32 s28, s29, s9
	s_lshl_b64 s[8:9], s[20:21], 1
	s_add_u32 s27, s27, s8
	s_addc_u32 s33, s28, s9
	s_abs_i32 s28, s18
	v_cvt_f32_u32_e32 v1, s28
	s_sub_i32 s29, 0, s28
	s_mov_b64 s[8:9], 0
	v_mov_b32_e32 v2, s25
	v_rcp_iflag_f32_e32 v1, v1
	v_mov_b32_e32 v3, s26
	v_mov_b32_e32 v4, s3
	s_sub_i32 s31, 0, s18
	v_mul_f32_e32 v1, 0x4f7ffffe, v1
	v_cvt_u32_f32_e32 v1, v1
	v_mul_lo_u32 v5, s29, v1
	s_and_b32 s29, s30, 0xffff
	s_ashr_i32 s30, s18, 31
	v_mul_hi_u32 v6, v1, v5
	v_mov_b32_e32 v5, s33
	v_add_u32_e32 v6, v1, v6
	v_mov_b32_e32 v1, v0
.LBB8_2:                                ; =>This Inner Loop Header: Depth=1
	v_sub_u32_e32 v8, 0, v1
	v_max_i32_e32 v8, v1, v8
	v_mul_hi_u32 v9, v8, v6
	v_ashrrev_i32_e32 v7, 31, v1
	v_xor_b32_e32 v7, s30, v7
	v_mul_lo_u32 v10, v9, s28
	v_add_u32_e32 v11, 1, v9
	v_sub_u32_e32 v8, v8, v10
	v_cmp_le_u32_e32 vcc, s28, v8
	v_subrev_u32_e32 v10, s28, v8
	v_cndmask_b32_e32 v9, v9, v11, vcc
	v_cndmask_b32_e32 v8, v8, v10, vcc
	v_add_u32_e32 v10, 1, v9
	v_cmp_le_u32_e32 vcc, s28, v8
	v_cndmask_b32_e32 v8, v9, v10, vcc
	v_xor_b32_e32 v8, v8, v7
	v_sub_u32_e32 v9, v8, v7
	v_ashrrev_i32_e32 v11, 31, v9
	v_mul_lo_u32 v12, s13, v9
	v_mad_u64_u32 v[7:8], s[34:35], s12, v9, 0
	v_mad_u64_u32 v[9:10], s[34:35], s31, v9, v[1:2]
	v_mul_lo_u32 v11, s12, v11
	v_add_u32_e32 v1, s29, v1
	v_ashrrev_i32_e32 v10, 31, v9
	v_lshlrev_b64 v[9:10], 1, v[9:10]
	v_add3_u32 v8, v8, v11, v12
	v_add_co_u32_e32 v11, vcc, s24, v9
	v_addc_co_u32_e32 v12, vcc, v2, v10, vcc
	v_lshlrev_b64 v[7:8], 1, v[7:8]
	v_add_co_u32_e32 v13, vcc, s19, v9
	v_addc_co_u32_e32 v14, vcc, v3, v10, vcc
	v_add_co_u32_e32 v7, vcc, s27, v7
	v_addc_co_u32_e32 v8, vcc, v5, v8, vcc
	;; [unrolled: 2-line block ×3, first 2 shown]
	global_load_ushort v15, v[11:12], off
	global_load_ushort v16, v[13:14], off
	v_add_co_u32_e32 v9, vcc, s2, v7
	v_addc_co_u32_e32 v10, vcc, v8, v4, vcc
	global_load_ushort v11, v[7:8], off
	global_load_ushort v12, v[9:10], off
	v_cmp_le_i32_e32 vcc, s14, v1
	s_or_b64 s[8:9], vcc, s[8:9]
	s_waitcnt vmcnt(3)
	v_cvt_f32_f16_e32 v13, v15
	s_waitcnt vmcnt(2)
	v_cvt_f32_f16_e32 v14, v16
	v_cndmask_b32_e64 v14, v14, -v14, s[16:17]
	s_waitcnt vmcnt(0)
	v_cvt_f32_f16_e32 v12, v12
	v_mul_f32_e32 v16, v14, v12
	v_mul_f32_e32 v12, v13, v12
	v_fma_mixlo_f16 v13, v15, v11, -v16 op_sel_hi:[1,1,0]
	v_fma_mixlo_f16 v11, v14, v11, v12 op_sel_hi:[0,1,0]
	global_store_short v[7:8], v13, off
	global_store_short v[9:10], v11, off
	s_andn2_b64 exec, exec, s[8:9]
	s_cbranch_execnz .LBB8_2
.LBB8_3:
	s_or_b64 exec, exec, s[22:23]
	s_cmp_lg_u64 s[0:1], 0
	s_cbranch_scc0 .LBB8_7
; %bb.4:
	s_mul_i32 s8, s15, s18
	v_cmp_gt_i32_e32 vcc, s8, v0
	s_and_saveexec_b64 s[14:15], vcc
	s_cbranch_execz .LBB8_7
; %bb.5:
	s_mul_i32 s7, s10, s7
	s_mul_hi_u32 s9, s10, s6
	s_add_i32 s7, s9, s7
	s_mul_i32 s9, s11, s6
	s_add_i32 s7, s7, s9
	s_mul_i32 s6, s10, s6
	s_lshl_b64 s[6:7], s[6:7], 1
	s_add_u32 s6, s0, s6
	s_addc_u32 s7, s1, s7
	s_lshl_b64 s[0:1], s[20:21], 1
	s_add_u32 s6, s6, s0
	s_addc_u32 s10, s7, s1
	s_abs_i32 s7, s18
	v_cvt_f32_u32_e32 v1, s7
	s_load_dword s4, s[4:5], 0x6c
	s_sub_i32 s5, 0, s7
	s_mov_b64 s[0:1], 0
	v_rcp_iflag_f32_e32 v1, v1
	v_mov_b32_e32 v2, s26
	s_waitcnt lgkmcnt(0)
	s_and_b32 s4, s4, 0xffff
	s_sub_i32 s9, 0, s18
	v_mul_f32_e32 v1, 0x4f7ffffe, v1
	v_cvt_u32_f32_e32 v4, v1
	v_mov_b32_e32 v1, s25
	v_mul_lo_u32 v3, s5, v4
	s_ashr_i32 s5, s18, 31
	v_mul_hi_u32 v5, v4, v3
	v_mov_b32_e32 v3, s10
	v_add_u32_e32 v4, v4, v5
	v_mov_b32_e32 v5, s3
.LBB8_6:                                ; =>This Inner Loop Header: Depth=1
	v_sub_u32_e32 v7, 0, v0
	v_max_i32_e32 v7, v0, v7
	v_mul_hi_u32 v8, v7, v4
	v_ashrrev_i32_e32 v6, 31, v0
	v_xor_b32_e32 v6, s5, v6
	v_mul_lo_u32 v9, v8, s7
	v_add_u32_e32 v10, 1, v8
	v_sub_u32_e32 v7, v7, v9
	v_cmp_le_u32_e32 vcc, s7, v7
	v_subrev_u32_e32 v9, s7, v7
	v_cndmask_b32_e32 v8, v8, v10, vcc
	v_cndmask_b32_e32 v7, v7, v9, vcc
	v_add_u32_e32 v9, 1, v8
	v_cmp_le_u32_e32 vcc, s7, v7
	v_cndmask_b32_e32 v7, v8, v9, vcc
	v_xor_b32_e32 v7, v7, v6
	v_sub_u32_e32 v8, v7, v6
	v_ashrrev_i32_e32 v10, 31, v8
	v_mul_lo_u32 v11, s13, v8
	v_mad_u64_u32 v[6:7], s[10:11], s12, v8, 0
	v_mad_u64_u32 v[8:9], s[10:11], s9, v8, v[0:1]
	v_mul_lo_u32 v10, s12, v10
	v_add_u32_e32 v0, s4, v0
	v_ashrrev_i32_e32 v9, 31, v8
	v_lshlrev_b64 v[8:9], 1, v[8:9]
	v_add3_u32 v7, v7, v10, v11
	v_add_co_u32_e32 v10, vcc, s24, v8
	v_addc_co_u32_e32 v11, vcc, v1, v9, vcc
	v_lshlrev_b64 v[6:7], 1, v[6:7]
	v_add_co_u32_e32 v12, vcc, s19, v8
	v_addc_co_u32_e32 v13, vcc, v2, v9, vcc
	v_add_co_u32_e32 v6, vcc, s6, v6
	v_addc_co_u32_e32 v7, vcc, v3, v7, vcc
	;; [unrolled: 2-line block ×3, first 2 shown]
	global_load_ushort v14, v[10:11], off
	global_load_ushort v15, v[12:13], off
	v_add_co_u32_e32 v8, vcc, s2, v6
	v_addc_co_u32_e32 v9, vcc, v7, v5, vcc
	global_load_ushort v10, v[6:7], off
	global_load_ushort v11, v[8:9], off
	v_cmp_le_i32_e32 vcc, s8, v0
	s_or_b64 s[0:1], vcc, s[0:1]
	s_waitcnt vmcnt(3)
	v_cvt_f32_f16_e32 v12, v14
	s_waitcnt vmcnt(2)
	v_cvt_f32_f16_e32 v13, v15
	v_cndmask_b32_e64 v13, v13, -v13, s[16:17]
	s_waitcnt vmcnt(0)
	v_cvt_f32_f16_e32 v11, v11
	v_mul_f32_e32 v15, v13, v11
	v_mul_f32_e32 v11, v12, v11
	v_fma_mixlo_f16 v12, v14, v10, -v15 op_sel_hi:[1,1,0]
	v_fma_mixlo_f16 v10, v13, v10, v11 op_sel_hi:[0,1,0]
	global_store_short v[6:7], v12, off
	global_store_short v[8:9], v10, off
	s_andn2_b64 exec, exec, s[0:1]
	s_cbranch_execnz .LBB8_6
.LBB8_7:
	s_endpgm
	.section	.rodata,"a",@progbits
	.p2align	6, 0x0
	.amdhsa_kernel _ZN4vllm23rotary_embedding_kernelIN3c104HalfES2_Lb1EEEvPKlPT_S6_PKT0_illliiilb
		.amdhsa_group_segment_fixed_size 0
		.amdhsa_private_segment_fixed_size 0
		.amdhsa_kernarg_size 352
		.amdhsa_user_sgpr_count 6
		.amdhsa_user_sgpr_private_segment_buffer 1
		.amdhsa_user_sgpr_dispatch_ptr 0
		.amdhsa_user_sgpr_queue_ptr 0
		.amdhsa_user_sgpr_kernarg_segment_ptr 1
		.amdhsa_user_sgpr_dispatch_id 0
		.amdhsa_user_sgpr_flat_scratch_init 0
		.amdhsa_user_sgpr_private_segment_size 0
		.amdhsa_uses_dynamic_stack 0
		.amdhsa_system_sgpr_private_segment_wavefront_offset 0
		.amdhsa_system_sgpr_workgroup_id_x 1
		.amdhsa_system_sgpr_workgroup_id_y 0
		.amdhsa_system_sgpr_workgroup_id_z 0
		.amdhsa_system_sgpr_workgroup_info 0
		.amdhsa_system_vgpr_workitem_id 0
		.amdhsa_next_free_vgpr 17
		.amdhsa_next_free_sgpr 36
		.amdhsa_reserve_vcc 1
		.amdhsa_reserve_flat_scratch 0
		.amdhsa_float_round_mode_32 0
		.amdhsa_float_round_mode_16_64 0
		.amdhsa_float_denorm_mode_32 3
		.amdhsa_float_denorm_mode_16_64 3
		.amdhsa_dx10_clamp 1
		.amdhsa_ieee_mode 1
		.amdhsa_fp16_overflow 0
		.amdhsa_exception_fp_ieee_invalid_op 0
		.amdhsa_exception_fp_denorm_src 0
		.amdhsa_exception_fp_ieee_div_zero 0
		.amdhsa_exception_fp_ieee_overflow 0
		.amdhsa_exception_fp_ieee_underflow 0
		.amdhsa_exception_fp_ieee_inexact 0
		.amdhsa_exception_int_div_zero 0
	.end_amdhsa_kernel
	.section	.text._ZN4vllm23rotary_embedding_kernelIN3c104HalfES2_Lb1EEEvPKlPT_S6_PKT0_illliiilb,"axG",@progbits,_ZN4vllm23rotary_embedding_kernelIN3c104HalfES2_Lb1EEEvPKlPT_S6_PKT0_illliiilb,comdat
.Lfunc_end8:
	.size	_ZN4vllm23rotary_embedding_kernelIN3c104HalfES2_Lb1EEEvPKlPT_S6_PKT0_illliiilb, .Lfunc_end8-_ZN4vllm23rotary_embedding_kernelIN3c104HalfES2_Lb1EEEvPKlPT_S6_PKT0_illliiilb
                                        ; -- End function
	.set _ZN4vllm23rotary_embedding_kernelIN3c104HalfES2_Lb1EEEvPKlPT_S6_PKT0_illliiilb.num_vgpr, 17
	.set _ZN4vllm23rotary_embedding_kernelIN3c104HalfES2_Lb1EEEvPKlPT_S6_PKT0_illliiilb.num_agpr, 0
	.set _ZN4vllm23rotary_embedding_kernelIN3c104HalfES2_Lb1EEEvPKlPT_S6_PKT0_illliiilb.numbered_sgpr, 36
	.set _ZN4vllm23rotary_embedding_kernelIN3c104HalfES2_Lb1EEEvPKlPT_S6_PKT0_illliiilb.num_named_barrier, 0
	.set _ZN4vllm23rotary_embedding_kernelIN3c104HalfES2_Lb1EEEvPKlPT_S6_PKT0_illliiilb.private_seg_size, 0
	.set _ZN4vllm23rotary_embedding_kernelIN3c104HalfES2_Lb1EEEvPKlPT_S6_PKT0_illliiilb.uses_vcc, 1
	.set _ZN4vllm23rotary_embedding_kernelIN3c104HalfES2_Lb1EEEvPKlPT_S6_PKT0_illliiilb.uses_flat_scratch, 0
	.set _ZN4vllm23rotary_embedding_kernelIN3c104HalfES2_Lb1EEEvPKlPT_S6_PKT0_illliiilb.has_dyn_sized_stack, 0
	.set _ZN4vllm23rotary_embedding_kernelIN3c104HalfES2_Lb1EEEvPKlPT_S6_PKT0_illliiilb.has_recursion, 0
	.set _ZN4vllm23rotary_embedding_kernelIN3c104HalfES2_Lb1EEEvPKlPT_S6_PKT0_illliiilb.has_indirect_call, 0
	.section	.AMDGPU.csdata,"",@progbits
; Kernel info:
; codeLenInByte = 1112
; TotalNumSgprs: 40
; NumVgprs: 17
; ScratchSize: 0
; MemoryBound: 0
; FloatMode: 240
; IeeeMode: 1
; LDSByteSize: 0 bytes/workgroup (compile time only)
; SGPRBlocks: 4
; VGPRBlocks: 4
; NumSGPRsForWavesPerEU: 40
; NumVGPRsForWavesPerEU: 17
; Occupancy: 10
; WaveLimiterHint : 1
; COMPUTE_PGM_RSRC2:SCRATCH_EN: 0
; COMPUTE_PGM_RSRC2:USER_SGPR: 6
; COMPUTE_PGM_RSRC2:TRAP_HANDLER: 0
; COMPUTE_PGM_RSRC2:TGID_X_EN: 1
; COMPUTE_PGM_RSRC2:TGID_Y_EN: 0
; COMPUTE_PGM_RSRC2:TGID_Z_EN: 0
; COMPUTE_PGM_RSRC2:TIDIG_COMP_CNT: 0
	.section	.text._ZN4vllm23rotary_embedding_kernelIN3c104HalfES2_Lb0EEEvPKlPT_S6_PKT0_illliiilb,"axG",@progbits,_ZN4vllm23rotary_embedding_kernelIN3c104HalfES2_Lb0EEEvPKlPT_S6_PKT0_illliiilb,comdat
	.protected	_ZN4vllm23rotary_embedding_kernelIN3c104HalfES2_Lb0EEEvPKlPT_S6_PKT0_illliiilb ; -- Begin function _ZN4vllm23rotary_embedding_kernelIN3c104HalfES2_Lb0EEEvPKlPT_S6_PKT0_illliiilb
	.globl	_ZN4vllm23rotary_embedding_kernelIN3c104HalfES2_Lb0EEEvPKlPT_S6_PKT0_illliiilb
	.p2align	8
	.type	_ZN4vllm23rotary_embedding_kernelIN3c104HalfES2_Lb0EEEvPKlPT_S6_PKT0_illliiilb,@function
_ZN4vllm23rotary_embedding_kernelIN3c104HalfES2_Lb0EEEvPKlPT_S6_PKT0_illliiilb: ; @_ZN4vllm23rotary_embedding_kernelIN3c104HalfES2_Lb0EEEvPKlPT_S6_PKT0_illliiilb
; %bb.0:
	s_load_dword s25, s[4:5], 0x20
	s_load_dword s7, s[4:5], 0x58
	s_load_dwordx2 s[8:9], s[4:5], 0x0
	s_load_dwordx4 s[0:3], s[4:5], 0x10
	s_waitcnt lgkmcnt(0)
	s_ashr_i32 s24, s25, 31
	s_bitcmp1_b32 s7, 0
	s_cselect_b64 s[16:17], -1, 0
	s_ashr_i32 s7, s6, 31
	s_lshl_b64 s[10:11], s[6:7], 3
	s_add_u32 s20, s8, s10
	s_addc_u32 s21, s9, s11
	s_load_dwordx2 s[22:23], s[20:21], 0x0
	s_load_dwordx2 s[18:19], s[4:5], 0x50
	s_load_dwordx8 s[8:15], s[4:5], 0x28
	s_waitcnt lgkmcnt(0)
	s_mul_i32 s20, s22, s24
	s_mul_hi_u32 s21, s22, s25
	s_add_i32 s20, s21, s20
	s_mul_i32 s21, s23, s25
	s_add_i32 s21, s20, s21
	s_mul_i32 s20, s22, s25
	s_lshl_b64 s[20:21], s[20:21], 1
	s_add_u32 s22, s2, s20
	s_addc_u32 s24, s3, s21
	s_lshr_b32 s2, s25, 31
	s_add_i32 s25, s25, s2
	s_ashr_i32 s2, s25, 1
	s_ashr_i32 s3, s2, 31
	s_lshl_b64 s[20:21], s[2:3], 1
	s_add_u32 s23, s22, s20
	s_mul_i32 s14, s14, s2
	s_addc_u32 s25, s24, s21
	v_cmp_gt_i32_e32 vcc, s14, v0
	s_and_saveexec_b64 s[20:21], vcc
	s_cbranch_execz .LBB9_3
; %bb.1:
	s_load_dwordx2 s[26:27], s[4:5], 0x8
	s_mul_i32 s28, s8, s7
	s_mul_hi_u32 s29, s8, s6
	s_add_i32 s28, s29, s28
	s_mul_i32 s9, s9, s6
	s_add_i32 s9, s28, s9
	s_mul_i32 s8, s8, s6
	s_lshl_b64 s[8:9], s[8:9], 1
	s_load_dword s28, s[4:5], 0x6c
	s_waitcnt lgkmcnt(0)
	s_add_u32 s26, s26, s8
	s_addc_u32 s27, s27, s9
	s_lshl_b64 s[8:9], s[18:19], 1
	s_add_u32 s26, s26, s8
	s_addc_u32 s33, s27, s9
	s_abs_i32 s27, s2
	v_cvt_f32_u32_e32 v1, s27
	s_sub_i32 s29, 0, s27
	s_and_b32 s28, s28, 0xffff
	s_lshl_b32 s30, s2, 1
	v_rcp_iflag_f32_e32 v1, v1
	s_mov_b64 s[8:9], 0
	s_sub_i32 s30, 0, s30
	s_lshl_b32 s31, s28, 1
	v_mul_f32_e32 v1, 0x4f7ffffe, v1
	v_cvt_u32_f32_e32 v2, v1
	v_lshlrev_b32_e32 v1, 1, v0
	v_mov_b32_e32 v5, s24
	v_mov_b32_e32 v6, s25
	v_mul_lo_u32 v3, s29, v2
	s_sub_i32 s29, 0, s2
	v_mul_hi_u32 v4, v2, v3
	v_mov_b32_e32 v3, s33
	v_add_u32_e32 v4, v2, v4
	v_mov_b32_e32 v2, v0
.LBB9_2:                                ; =>This Inner Loop Header: Depth=1
	v_sub_u32_e32 v8, 0, v2
	v_max_i32_e32 v8, v2, v8
	v_mul_hi_u32 v9, v8, v4
	v_ashrrev_i32_e32 v7, 31, v2
	v_xor_b32_e32 v7, s3, v7
	v_mul_lo_u32 v10, v9, s27
	v_add_u32_e32 v11, 1, v9
	v_sub_u32_e32 v8, v8, v10
	v_cmp_le_u32_e32 vcc, s27, v8
	v_subrev_u32_e32 v10, s27, v8
	v_cndmask_b32_e32 v9, v9, v11, vcc
	v_cndmask_b32_e32 v8, v8, v10, vcc
	v_add_u32_e32 v10, 1, v9
	v_cmp_le_u32_e32 vcc, s27, v8
	v_cndmask_b32_e32 v8, v9, v10, vcc
	v_xor_b32_e32 v8, v8, v7
	v_sub_u32_e32 v11, v8, v7
	v_mad_u64_u32 v[9:10], s[34:35], s29, v11, v[2:3]
	v_ashrrev_i32_e32 v13, 31, v11
	v_mul_lo_u32 v14, s13, v11
	v_mad_u64_u32 v[7:8], s[34:35], s12, v11, 0
	v_mul_lo_u32 v13, s12, v13
	v_ashrrev_i32_e32 v10, 31, v9
	v_lshlrev_b64 v[9:10], 1, v[9:10]
	v_mad_u64_u32 v[11:12], s[34:35], s30, v11, v[1:2]
	v_add3_u32 v8, v8, v13, v14
	v_add_co_u32_e32 v13, vcc, s22, v9
	v_addc_co_u32_e32 v14, vcc, v5, v10, vcc
	v_lshlrev_b64 v[7:8], 1, v[7:8]
	v_add_co_u32_e32 v9, vcc, s23, v9
	v_ashrrev_i32_e32 v12, 31, v11
	v_addc_co_u32_e32 v10, vcc, v6, v10, vcc
	v_lshlrev_b64 v[11:12], 1, v[11:12]
	v_add_co_u32_e32 v7, vcc, s26, v7
	v_addc_co_u32_e32 v8, vcc, v3, v8, vcc
	v_add_co_u32_e32 v7, vcc, v7, v11
	global_load_ushort v15, v[13:14], off
	global_load_ushort v16, v[9:10], off
	v_addc_co_u32_e32 v8, vcc, v8, v12, vcc
	global_load_dword v9, v[7:8], off
	v_add_u32_e32 v2, s28, v2
	v_cmp_le_i32_e32 vcc, s14, v2
	v_add_u32_e32 v1, s31, v1
	s_or_b64 s[8:9], vcc, s[8:9]
	s_waitcnt vmcnt(2)
	v_cvt_f32_f16_e32 v12, v15
	s_waitcnt vmcnt(1)
	v_cvt_f32_f16_e32 v10, v16
	s_waitcnt vmcnt(0)
	v_cvt_f32_f16_sdwa v11, v9 dst_sel:DWORD dst_unused:UNUSED_PAD src0_sel:WORD_1
	v_cndmask_b32_e64 v10, v10, -v10, s[16:17]
	v_mul_f32_e32 v13, v10, v11
	v_mul_f32_e32 v11, v12, v11
	v_fma_mixlo_f16 v12, v15, v9, -v13 op_sel_hi:[1,1,0]
	v_fma_mixhi_f16 v12, v10, v9, v11 op_sel_hi:[0,1,0]
	global_store_dword v[7:8], v12, off
	s_andn2_b64 exec, exec, s[8:9]
	s_cbranch_execnz .LBB9_2
.LBB9_3:
	s_or_b64 exec, exec, s[20:21]
	s_cmp_lg_u64 s[0:1], 0
	s_cbranch_scc0 .LBB9_7
; %bb.4:
	s_mul_i32 s8, s15, s2
	v_cmp_gt_i32_e32 vcc, s8, v0
	s_and_saveexec_b64 s[14:15], vcc
	s_cbranch_execz .LBB9_7
; %bb.5:
	s_mul_i32 s7, s10, s7
	s_mul_hi_u32 s9, s10, s6
	s_add_i32 s7, s9, s7
	s_mul_i32 s9, s11, s6
	s_add_i32 s7, s7, s9
	s_mul_i32 s6, s10, s6
	s_lshl_b64 s[6:7], s[6:7], 1
	s_add_u32 s6, s0, s6
	s_addc_u32 s7, s1, s7
	s_lshl_b64 s[0:1], s[18:19], 1
	s_add_u32 s6, s6, s0
	s_addc_u32 s10, s7, s1
	s_abs_i32 s7, s2
	v_cvt_f32_u32_e32 v1, s7
	s_load_dword s4, s[4:5], 0x6c
	s_sub_i32 s5, 0, s7
	s_mov_b64 s[0:1], 0
	v_rcp_iflag_f32_e32 v1, v1
	v_mov_b32_e32 v5, s25
	s_waitcnt lgkmcnt(0)
	s_and_b32 s4, s4, 0xffff
	s_lshl_b32 s9, s4, 1
	v_mul_f32_e32 v1, 0x4f7ffffe, v1
	v_cvt_u32_f32_e32 v3, v1
	v_lshlrev_b32_e32 v1, 1, v0
	v_mul_lo_u32 v2, s5, v3
	s_sub_i32 s5, 0, s2
	s_lshl_b32 s2, s2, 1
	s_sub_i32 s2, 0, s2
	v_mul_hi_u32 v4, v3, v2
	v_mov_b32_e32 v2, s10
	v_add_u32_e32 v3, v3, v4
	v_mov_b32_e32 v4, s24
.LBB9_6:                                ; =>This Inner Loop Header: Depth=1
	v_sub_u32_e32 v7, 0, v0
	v_max_i32_e32 v7, v0, v7
	v_mul_hi_u32 v8, v7, v3
	v_ashrrev_i32_e32 v6, 31, v0
	v_xor_b32_e32 v6, s3, v6
	v_mul_lo_u32 v9, v8, s7
	v_add_u32_e32 v10, 1, v8
	v_sub_u32_e32 v7, v7, v9
	v_cmp_le_u32_e32 vcc, s7, v7
	v_subrev_u32_e32 v9, s7, v7
	v_cndmask_b32_e32 v8, v8, v10, vcc
	v_cndmask_b32_e32 v7, v7, v9, vcc
	v_add_u32_e32 v9, 1, v8
	v_cmp_le_u32_e32 vcc, s7, v7
	v_cndmask_b32_e32 v7, v8, v9, vcc
	v_xor_b32_e32 v7, v7, v6
	v_sub_u32_e32 v10, v7, v6
	v_mad_u64_u32 v[8:9], s[10:11], s5, v10, v[0:1]
	v_ashrrev_i32_e32 v12, 31, v10
	v_mul_lo_u32 v13, s13, v10
	v_mad_u64_u32 v[6:7], s[10:11], s12, v10, 0
	v_mul_lo_u32 v12, s12, v12
	v_ashrrev_i32_e32 v9, 31, v8
	v_lshlrev_b64 v[8:9], 1, v[8:9]
	v_mad_u64_u32 v[10:11], s[10:11], s2, v10, v[1:2]
	v_add3_u32 v7, v7, v12, v13
	v_add_co_u32_e32 v12, vcc, s22, v8
	v_addc_co_u32_e32 v13, vcc, v4, v9, vcc
	v_lshlrev_b64 v[6:7], 1, v[6:7]
	v_add_co_u32_e32 v8, vcc, s23, v8
	v_ashrrev_i32_e32 v11, 31, v10
	v_addc_co_u32_e32 v9, vcc, v5, v9, vcc
	v_lshlrev_b64 v[10:11], 1, v[10:11]
	v_add_co_u32_e32 v6, vcc, s6, v6
	v_addc_co_u32_e32 v7, vcc, v2, v7, vcc
	v_add_co_u32_e32 v6, vcc, v6, v10
	global_load_ushort v14, v[12:13], off
	global_load_ushort v15, v[8:9], off
	v_addc_co_u32_e32 v7, vcc, v7, v11, vcc
	global_load_dword v8, v[6:7], off
	v_add_u32_e32 v0, s4, v0
	v_cmp_le_i32_e32 vcc, s8, v0
	v_add_u32_e32 v1, s9, v1
	s_or_b64 s[0:1], vcc, s[0:1]
	s_waitcnt vmcnt(2)
	v_cvt_f32_f16_e32 v11, v14
	s_waitcnt vmcnt(1)
	v_cvt_f32_f16_e32 v9, v15
	s_waitcnt vmcnt(0)
	v_cvt_f32_f16_sdwa v10, v8 dst_sel:DWORD dst_unused:UNUSED_PAD src0_sel:WORD_1
	v_cndmask_b32_e64 v9, v9, -v9, s[16:17]
	v_mul_f32_e32 v12, v9, v10
	v_mul_f32_e32 v10, v11, v10
	v_fma_mixlo_f16 v11, v14, v8, -v12 op_sel_hi:[1,1,0]
	v_fma_mixhi_f16 v11, v9, v8, v10 op_sel_hi:[0,1,0]
	global_store_dword v[6:7], v11, off
	s_andn2_b64 exec, exec, s[0:1]
	s_cbranch_execnz .LBB9_6
.LBB9_7:
	s_endpgm
	.section	.rodata,"a",@progbits
	.p2align	6, 0x0
	.amdhsa_kernel _ZN4vllm23rotary_embedding_kernelIN3c104HalfES2_Lb0EEEvPKlPT_S6_PKT0_illliiilb
		.amdhsa_group_segment_fixed_size 0
		.amdhsa_private_segment_fixed_size 0
		.amdhsa_kernarg_size 352
		.amdhsa_user_sgpr_count 6
		.amdhsa_user_sgpr_private_segment_buffer 1
		.amdhsa_user_sgpr_dispatch_ptr 0
		.amdhsa_user_sgpr_queue_ptr 0
		.amdhsa_user_sgpr_kernarg_segment_ptr 1
		.amdhsa_user_sgpr_dispatch_id 0
		.amdhsa_user_sgpr_flat_scratch_init 0
		.amdhsa_user_sgpr_private_segment_size 0
		.amdhsa_uses_dynamic_stack 0
		.amdhsa_system_sgpr_private_segment_wavefront_offset 0
		.amdhsa_system_sgpr_workgroup_id_x 1
		.amdhsa_system_sgpr_workgroup_id_y 0
		.amdhsa_system_sgpr_workgroup_id_z 0
		.amdhsa_system_sgpr_workgroup_info 0
		.amdhsa_system_vgpr_workitem_id 0
		.amdhsa_next_free_vgpr 17
		.amdhsa_next_free_sgpr 36
		.amdhsa_reserve_vcc 1
		.amdhsa_reserve_flat_scratch 0
		.amdhsa_float_round_mode_32 0
		.amdhsa_float_round_mode_16_64 0
		.amdhsa_float_denorm_mode_32 3
		.amdhsa_float_denorm_mode_16_64 3
		.amdhsa_dx10_clamp 1
		.amdhsa_ieee_mode 1
		.amdhsa_fp16_overflow 0
		.amdhsa_exception_fp_ieee_invalid_op 0
		.amdhsa_exception_fp_denorm_src 0
		.amdhsa_exception_fp_ieee_div_zero 0
		.amdhsa_exception_fp_ieee_overflow 0
		.amdhsa_exception_fp_ieee_underflow 0
		.amdhsa_exception_fp_ieee_inexact 0
		.amdhsa_exception_int_div_zero 0
	.end_amdhsa_kernel
	.section	.text._ZN4vllm23rotary_embedding_kernelIN3c104HalfES2_Lb0EEEvPKlPT_S6_PKT0_illliiilb,"axG",@progbits,_ZN4vllm23rotary_embedding_kernelIN3c104HalfES2_Lb0EEEvPKlPT_S6_PKT0_illliiilb,comdat
.Lfunc_end9:
	.size	_ZN4vllm23rotary_embedding_kernelIN3c104HalfES2_Lb0EEEvPKlPT_S6_PKT0_illliiilb, .Lfunc_end9-_ZN4vllm23rotary_embedding_kernelIN3c104HalfES2_Lb0EEEvPKlPT_S6_PKT0_illliiilb
                                        ; -- End function
	.set _ZN4vllm23rotary_embedding_kernelIN3c104HalfES2_Lb0EEEvPKlPT_S6_PKT0_illliiilb.num_vgpr, 17
	.set _ZN4vllm23rotary_embedding_kernelIN3c104HalfES2_Lb0EEEvPKlPT_S6_PKT0_illliiilb.num_agpr, 0
	.set _ZN4vllm23rotary_embedding_kernelIN3c104HalfES2_Lb0EEEvPKlPT_S6_PKT0_illliiilb.numbered_sgpr, 36
	.set _ZN4vllm23rotary_embedding_kernelIN3c104HalfES2_Lb0EEEvPKlPT_S6_PKT0_illliiilb.num_named_barrier, 0
	.set _ZN4vllm23rotary_embedding_kernelIN3c104HalfES2_Lb0EEEvPKlPT_S6_PKT0_illliiilb.private_seg_size, 0
	.set _ZN4vllm23rotary_embedding_kernelIN3c104HalfES2_Lb0EEEvPKlPT_S6_PKT0_illliiilb.uses_vcc, 1
	.set _ZN4vllm23rotary_embedding_kernelIN3c104HalfES2_Lb0EEEvPKlPT_S6_PKT0_illliiilb.uses_flat_scratch, 0
	.set _ZN4vllm23rotary_embedding_kernelIN3c104HalfES2_Lb0EEEvPKlPT_S6_PKT0_illliiilb.has_dyn_sized_stack, 0
	.set _ZN4vllm23rotary_embedding_kernelIN3c104HalfES2_Lb0EEEvPKlPT_S6_PKT0_illliiilb.has_recursion, 0
	.set _ZN4vllm23rotary_embedding_kernelIN3c104HalfES2_Lb0EEEvPKlPT_S6_PKT0_illliiilb.has_indirect_call, 0
	.section	.AMDGPU.csdata,"",@progbits
; Kernel info:
; codeLenInByte = 1136
; TotalNumSgprs: 40
; NumVgprs: 17
; ScratchSize: 0
; MemoryBound: 0
; FloatMode: 240
; IeeeMode: 1
; LDSByteSize: 0 bytes/workgroup (compile time only)
; SGPRBlocks: 4
; VGPRBlocks: 4
; NumSGPRsForWavesPerEU: 40
; NumVGPRsForWavesPerEU: 17
; Occupancy: 10
; WaveLimiterHint : 1
; COMPUTE_PGM_RSRC2:SCRATCH_EN: 0
; COMPUTE_PGM_RSRC2:USER_SGPR: 6
; COMPUTE_PGM_RSRC2:TRAP_HANDLER: 0
; COMPUTE_PGM_RSRC2:TGID_X_EN: 1
; COMPUTE_PGM_RSRC2:TGID_Y_EN: 0
; COMPUTE_PGM_RSRC2:TGID_Z_EN: 0
; COMPUTE_PGM_RSRC2:TIDIG_COMP_CNT: 0
	.section	.text._ZN4vllm23rotary_embedding_kernelIN3c104HalfENS1_8BFloat16ELb1EEEvPKlPT_S7_PKT0_illliiilb,"axG",@progbits,_ZN4vllm23rotary_embedding_kernelIN3c104HalfENS1_8BFloat16ELb1EEEvPKlPT_S7_PKT0_illliiilb,comdat
	.protected	_ZN4vllm23rotary_embedding_kernelIN3c104HalfENS1_8BFloat16ELb1EEEvPKlPT_S7_PKT0_illliiilb ; -- Begin function _ZN4vllm23rotary_embedding_kernelIN3c104HalfENS1_8BFloat16ELb1EEEvPKlPT_S7_PKT0_illliiilb
	.globl	_ZN4vllm23rotary_embedding_kernelIN3c104HalfENS1_8BFloat16ELb1EEEvPKlPT_S7_PKT0_illliiilb
	.p2align	8
	.type	_ZN4vllm23rotary_embedding_kernelIN3c104HalfENS1_8BFloat16ELb1EEEvPKlPT_S7_PKT0_illliiilb,@function
_ZN4vllm23rotary_embedding_kernelIN3c104HalfENS1_8BFloat16ELb1EEEvPKlPT_S7_PKT0_illliiilb: ; @_ZN4vllm23rotary_embedding_kernelIN3c104HalfENS1_8BFloat16ELb1EEEvPKlPT_S7_PKT0_illliiilb
; %bb.0:
	s_load_dword s26, s[4:5], 0x20
	s_load_dword s7, s[4:5], 0x58
	s_load_dwordx2 s[8:9], s[4:5], 0x0
	s_load_dwordx4 s[0:3], s[4:5], 0x10
	s_waitcnt lgkmcnt(0)
	s_ashr_i32 s24, s26, 31
	s_bitcmp1_b32 s7, 0
	s_cselect_b64 s[16:17], -1, 0
	s_ashr_i32 s7, s6, 31
	s_lshl_b64 s[10:11], s[6:7], 3
	s_add_u32 s18, s8, s10
	s_addc_u32 s19, s9, s11
	s_load_dwordx2 s[22:23], s[18:19], 0x0
	s_load_dwordx2 s[20:21], s[4:5], 0x50
	s_load_dwordx8 s[8:15], s[4:5], 0x28
	s_waitcnt lgkmcnt(0)
	s_mul_i32 s18, s22, s24
	s_mul_hi_u32 s19, s22, s26
	s_add_i32 s18, s19, s18
	s_mul_i32 s19, s23, s26
	s_add_i32 s19, s18, s19
	s_mul_i32 s18, s22, s26
	s_lshl_b64 s[18:19], s[18:19], 1
	s_add_u32 s24, s2, s18
	s_addc_u32 s25, s3, s19
	s_lshr_b32 s2, s26, 31
	s_add_i32 s26, s26, s2
	s_ashr_i32 s18, s26, 1
	s_ashr_i32 s19, s18, 31
	s_lshl_b64 s[2:3], s[18:19], 1
	s_add_u32 s19, s24, s2
	s_mul_i32 s14, s14, s18
	s_addc_u32 s26, s25, s3
	v_cmp_gt_i32_e32 vcc, s14, v0
	s_and_saveexec_b64 s[22:23], vcc
	s_cbranch_execz .LBB10_3
; %bb.1:
	s_load_dwordx2 s[28:29], s[4:5], 0x8
	s_mul_i32 s27, s8, s7
	s_mul_hi_u32 s30, s8, s6
	s_add_i32 s27, s30, s27
	s_mul_i32 s9, s9, s6
	s_add_i32 s9, s27, s9
	s_mul_i32 s8, s8, s6
	s_lshl_b64 s[8:9], s[8:9], 1
	s_load_dword s30, s[4:5], 0x6c
	s_waitcnt lgkmcnt(0)
	s_add_u32 s27, s28, s8
	s_addc_u32 s28, s29, s9
	s_lshl_b64 s[8:9], s[20:21], 1
	s_add_u32 s27, s27, s8
	s_addc_u32 s33, s28, s9
	s_abs_i32 s28, s18
	v_cvt_f32_u32_e32 v1, s28
	s_sub_i32 s29, 0, s28
	s_mov_b64 s[8:9], 0
	v_mov_b32_e32 v2, s25
	v_rcp_iflag_f32_e32 v1, v1
	v_mov_b32_e32 v3, s26
	v_mov_b32_e32 v4, s3
	s_sub_i32 s31, 0, s18
	v_mul_f32_e32 v1, 0x4f7ffffe, v1
	v_cvt_u32_f32_e32 v1, v1
	v_mul_lo_u32 v5, s29, v1
	s_and_b32 s29, s30, 0xffff
	s_ashr_i32 s30, s18, 31
	v_mul_hi_u32 v6, v1, v5
	v_mov_b32_e32 v5, s33
	v_add_u32_e32 v6, v1, v6
	v_mov_b32_e32 v1, v0
.LBB10_2:                               ; =>This Inner Loop Header: Depth=1
	v_sub_u32_e32 v8, 0, v1
	v_max_i32_e32 v8, v1, v8
	v_mul_hi_u32 v9, v8, v6
	v_ashrrev_i32_e32 v7, 31, v1
	v_xor_b32_e32 v7, s30, v7
	v_mul_lo_u32 v10, v9, s28
	v_add_u32_e32 v11, 1, v9
	v_sub_u32_e32 v8, v8, v10
	v_cmp_le_u32_e32 vcc, s28, v8
	v_subrev_u32_e32 v10, s28, v8
	v_cndmask_b32_e32 v9, v9, v11, vcc
	v_cndmask_b32_e32 v8, v8, v10, vcc
	v_add_u32_e32 v10, 1, v9
	v_cmp_le_u32_e32 vcc, s28, v8
	v_cndmask_b32_e32 v8, v9, v10, vcc
	v_xor_b32_e32 v8, v8, v7
	v_sub_u32_e32 v9, v8, v7
	v_ashrrev_i32_e32 v11, 31, v9
	v_mul_lo_u32 v12, s13, v9
	v_mad_u64_u32 v[7:8], s[34:35], s12, v9, 0
	v_mad_u64_u32 v[9:10], s[34:35], s31, v9, v[1:2]
	v_mul_lo_u32 v11, s12, v11
	v_add_u32_e32 v1, s29, v1
	v_ashrrev_i32_e32 v10, 31, v9
	v_lshlrev_b64 v[9:10], 1, v[9:10]
	v_add3_u32 v8, v8, v11, v12
	v_add_co_u32_e32 v11, vcc, s24, v9
	v_addc_co_u32_e32 v12, vcc, v2, v10, vcc
	v_lshlrev_b64 v[7:8], 1, v[7:8]
	v_add_co_u32_e32 v13, vcc, s19, v9
	v_addc_co_u32_e32 v14, vcc, v3, v10, vcc
	v_add_co_u32_e32 v7, vcc, s27, v7
	v_addc_co_u32_e32 v8, vcc, v5, v8, vcc
	;; [unrolled: 2-line block ×3, first 2 shown]
	v_add_co_u32_e32 v9, vcc, s2, v7
	global_load_ushort v11, v[11:12], off
	v_addc_co_u32_e32 v10, vcc, v8, v4, vcc
	global_load_ushort v12, v[7:8], off
	global_load_ushort v15, v[9:10], off
	;; [unrolled: 1-line block ×3, first 2 shown]
	v_cmp_le_i32_e32 vcc, s14, v1
	s_or_b64 s[8:9], vcc, s[8:9]
	s_waitcnt vmcnt(3)
	v_lshlrev_b32_e32 v11, 16, v11
	s_waitcnt vmcnt(2)
	v_cvt_f32_f16_e32 v14, v12
	s_waitcnt vmcnt(0)
	v_lshlrev_b32_e32 v13, 16, v16
	v_cvt_f32_f16_e32 v16, v15
	v_cndmask_b32_e64 v13, v13, -v13, s[16:17]
	v_mul_f32_e32 v14, v13, v14
	v_fma_mixlo_f16 v14, v11, v15, v14 op_sel_hi:[0,1,0]
	v_mul_f32_e32 v13, v13, v16
	v_fma_mixlo_f16 v11, v12, v11, -v13 op_sel_hi:[1,0,0]
	global_store_short v[7:8], v11, off
	global_store_short v[9:10], v14, off
	s_andn2_b64 exec, exec, s[8:9]
	s_cbranch_execnz .LBB10_2
.LBB10_3:
	s_or_b64 exec, exec, s[22:23]
	s_cmp_lg_u64 s[0:1], 0
	s_cbranch_scc0 .LBB10_7
; %bb.4:
	s_mul_i32 s8, s15, s18
	v_cmp_gt_i32_e32 vcc, s8, v0
	s_and_saveexec_b64 s[14:15], vcc
	s_cbranch_execz .LBB10_7
; %bb.5:
	s_mul_i32 s7, s10, s7
	s_mul_hi_u32 s9, s10, s6
	s_add_i32 s7, s9, s7
	s_mul_i32 s9, s11, s6
	s_add_i32 s7, s7, s9
	s_mul_i32 s6, s10, s6
	s_lshl_b64 s[6:7], s[6:7], 1
	s_add_u32 s6, s0, s6
	s_addc_u32 s7, s1, s7
	s_lshl_b64 s[0:1], s[20:21], 1
	s_add_u32 s6, s6, s0
	s_addc_u32 s10, s7, s1
	s_abs_i32 s7, s18
	v_cvt_f32_u32_e32 v1, s7
	s_load_dword s4, s[4:5], 0x6c
	s_sub_i32 s5, 0, s7
	s_mov_b64 s[0:1], 0
	v_rcp_iflag_f32_e32 v1, v1
	v_mov_b32_e32 v2, s26
	s_waitcnt lgkmcnt(0)
	s_and_b32 s4, s4, 0xffff
	s_sub_i32 s9, 0, s18
	v_mul_f32_e32 v1, 0x4f7ffffe, v1
	v_cvt_u32_f32_e32 v4, v1
	v_mov_b32_e32 v1, s25
	v_mul_lo_u32 v3, s5, v4
	s_ashr_i32 s5, s18, 31
	v_mul_hi_u32 v5, v4, v3
	v_mov_b32_e32 v3, s10
	v_add_u32_e32 v4, v4, v5
	v_mov_b32_e32 v5, s3
.LBB10_6:                               ; =>This Inner Loop Header: Depth=1
	v_sub_u32_e32 v7, 0, v0
	v_max_i32_e32 v7, v0, v7
	v_mul_hi_u32 v8, v7, v4
	v_ashrrev_i32_e32 v6, 31, v0
	v_xor_b32_e32 v6, s5, v6
	v_mul_lo_u32 v9, v8, s7
	v_add_u32_e32 v10, 1, v8
	v_sub_u32_e32 v7, v7, v9
	v_cmp_le_u32_e32 vcc, s7, v7
	v_subrev_u32_e32 v9, s7, v7
	v_cndmask_b32_e32 v8, v8, v10, vcc
	v_cndmask_b32_e32 v7, v7, v9, vcc
	v_add_u32_e32 v9, 1, v8
	v_cmp_le_u32_e32 vcc, s7, v7
	v_cndmask_b32_e32 v7, v8, v9, vcc
	v_xor_b32_e32 v7, v7, v6
	v_sub_u32_e32 v8, v7, v6
	v_ashrrev_i32_e32 v10, 31, v8
	v_mul_lo_u32 v11, s13, v8
	v_mad_u64_u32 v[6:7], s[10:11], s12, v8, 0
	v_mad_u64_u32 v[8:9], s[10:11], s9, v8, v[0:1]
	v_mul_lo_u32 v10, s12, v10
	v_add_u32_e32 v0, s4, v0
	v_ashrrev_i32_e32 v9, 31, v8
	v_lshlrev_b64 v[8:9], 1, v[8:9]
	v_add3_u32 v7, v7, v10, v11
	v_add_co_u32_e32 v10, vcc, s24, v8
	v_addc_co_u32_e32 v11, vcc, v1, v9, vcc
	v_lshlrev_b64 v[6:7], 1, v[6:7]
	v_add_co_u32_e32 v12, vcc, s19, v8
	v_addc_co_u32_e32 v13, vcc, v2, v9, vcc
	v_add_co_u32_e32 v6, vcc, s6, v6
	v_addc_co_u32_e32 v7, vcc, v3, v7, vcc
	;; [unrolled: 2-line block ×3, first 2 shown]
	v_add_co_u32_e32 v8, vcc, s2, v6
	global_load_ushort v10, v[10:11], off
	v_addc_co_u32_e32 v9, vcc, v7, v5, vcc
	global_load_ushort v11, v[6:7], off
	global_load_ushort v14, v[8:9], off
	;; [unrolled: 1-line block ×3, first 2 shown]
	v_cmp_le_i32_e32 vcc, s8, v0
	s_or_b64 s[0:1], vcc, s[0:1]
	s_waitcnt vmcnt(3)
	v_lshlrev_b32_e32 v10, 16, v10
	s_waitcnt vmcnt(2)
	v_cvt_f32_f16_e32 v13, v11
	s_waitcnt vmcnt(0)
	v_lshlrev_b32_e32 v12, 16, v15
	v_cvt_f32_f16_e32 v15, v14
	v_cndmask_b32_e64 v12, v12, -v12, s[16:17]
	v_mul_f32_e32 v13, v12, v13
	v_fma_mixlo_f16 v13, v10, v14, v13 op_sel_hi:[0,1,0]
	v_mul_f32_e32 v12, v12, v15
	v_fma_mixlo_f16 v10, v11, v10, -v12 op_sel_hi:[1,0,0]
	global_store_short v[6:7], v10, off
	global_store_short v[8:9], v13, off
	s_andn2_b64 exec, exec, s[0:1]
	s_cbranch_execnz .LBB10_6
.LBB10_7:
	s_endpgm
	.section	.rodata,"a",@progbits
	.p2align	6, 0x0
	.amdhsa_kernel _ZN4vllm23rotary_embedding_kernelIN3c104HalfENS1_8BFloat16ELb1EEEvPKlPT_S7_PKT0_illliiilb
		.amdhsa_group_segment_fixed_size 0
		.amdhsa_private_segment_fixed_size 0
		.amdhsa_kernarg_size 352
		.amdhsa_user_sgpr_count 6
		.amdhsa_user_sgpr_private_segment_buffer 1
		.amdhsa_user_sgpr_dispatch_ptr 0
		.amdhsa_user_sgpr_queue_ptr 0
		.amdhsa_user_sgpr_kernarg_segment_ptr 1
		.amdhsa_user_sgpr_dispatch_id 0
		.amdhsa_user_sgpr_flat_scratch_init 0
		.amdhsa_user_sgpr_private_segment_size 0
		.amdhsa_uses_dynamic_stack 0
		.amdhsa_system_sgpr_private_segment_wavefront_offset 0
		.amdhsa_system_sgpr_workgroup_id_x 1
		.amdhsa_system_sgpr_workgroup_id_y 0
		.amdhsa_system_sgpr_workgroup_id_z 0
		.amdhsa_system_sgpr_workgroup_info 0
		.amdhsa_system_vgpr_workitem_id 0
		.amdhsa_next_free_vgpr 17
		.amdhsa_next_free_sgpr 36
		.amdhsa_reserve_vcc 1
		.amdhsa_reserve_flat_scratch 0
		.amdhsa_float_round_mode_32 0
		.amdhsa_float_round_mode_16_64 0
		.amdhsa_float_denorm_mode_32 3
		.amdhsa_float_denorm_mode_16_64 3
		.amdhsa_dx10_clamp 1
		.amdhsa_ieee_mode 1
		.amdhsa_fp16_overflow 0
		.amdhsa_exception_fp_ieee_invalid_op 0
		.amdhsa_exception_fp_denorm_src 0
		.amdhsa_exception_fp_ieee_div_zero 0
		.amdhsa_exception_fp_ieee_overflow 0
		.amdhsa_exception_fp_ieee_underflow 0
		.amdhsa_exception_fp_ieee_inexact 0
		.amdhsa_exception_int_div_zero 0
	.end_amdhsa_kernel
	.section	.text._ZN4vllm23rotary_embedding_kernelIN3c104HalfENS1_8BFloat16ELb1EEEvPKlPT_S7_PKT0_illliiilb,"axG",@progbits,_ZN4vllm23rotary_embedding_kernelIN3c104HalfENS1_8BFloat16ELb1EEEvPKlPT_S7_PKT0_illliiilb,comdat
.Lfunc_end10:
	.size	_ZN4vllm23rotary_embedding_kernelIN3c104HalfENS1_8BFloat16ELb1EEEvPKlPT_S7_PKT0_illliiilb, .Lfunc_end10-_ZN4vllm23rotary_embedding_kernelIN3c104HalfENS1_8BFloat16ELb1EEEvPKlPT_S7_PKT0_illliiilb
                                        ; -- End function
	.set _ZN4vllm23rotary_embedding_kernelIN3c104HalfENS1_8BFloat16ELb1EEEvPKlPT_S7_PKT0_illliiilb.num_vgpr, 17
	.set _ZN4vllm23rotary_embedding_kernelIN3c104HalfENS1_8BFloat16ELb1EEEvPKlPT_S7_PKT0_illliiilb.num_agpr, 0
	.set _ZN4vllm23rotary_embedding_kernelIN3c104HalfENS1_8BFloat16ELb1EEEvPKlPT_S7_PKT0_illliiilb.numbered_sgpr, 36
	.set _ZN4vllm23rotary_embedding_kernelIN3c104HalfENS1_8BFloat16ELb1EEEvPKlPT_S7_PKT0_illliiilb.num_named_barrier, 0
	.set _ZN4vllm23rotary_embedding_kernelIN3c104HalfENS1_8BFloat16ELb1EEEvPKlPT_S7_PKT0_illliiilb.private_seg_size, 0
	.set _ZN4vllm23rotary_embedding_kernelIN3c104HalfENS1_8BFloat16ELb1EEEvPKlPT_S7_PKT0_illliiilb.uses_vcc, 1
	.set _ZN4vllm23rotary_embedding_kernelIN3c104HalfENS1_8BFloat16ELb1EEEvPKlPT_S7_PKT0_illliiilb.uses_flat_scratch, 0
	.set _ZN4vllm23rotary_embedding_kernelIN3c104HalfENS1_8BFloat16ELb1EEEvPKlPT_S7_PKT0_illliiilb.has_dyn_sized_stack, 0
	.set _ZN4vllm23rotary_embedding_kernelIN3c104HalfENS1_8BFloat16ELb1EEEvPKlPT_S7_PKT0_illliiilb.has_recursion, 0
	.set _ZN4vllm23rotary_embedding_kernelIN3c104HalfENS1_8BFloat16ELb1EEEvPKlPT_S7_PKT0_illliiilb.has_indirect_call, 0
	.section	.AMDGPU.csdata,"",@progbits
; Kernel info:
; codeLenInByte = 1120
; TotalNumSgprs: 40
; NumVgprs: 17
; ScratchSize: 0
; MemoryBound: 0
; FloatMode: 240
; IeeeMode: 1
; LDSByteSize: 0 bytes/workgroup (compile time only)
; SGPRBlocks: 4
; VGPRBlocks: 4
; NumSGPRsForWavesPerEU: 40
; NumVGPRsForWavesPerEU: 17
; Occupancy: 10
; WaveLimiterHint : 1
; COMPUTE_PGM_RSRC2:SCRATCH_EN: 0
; COMPUTE_PGM_RSRC2:USER_SGPR: 6
; COMPUTE_PGM_RSRC2:TRAP_HANDLER: 0
; COMPUTE_PGM_RSRC2:TGID_X_EN: 1
; COMPUTE_PGM_RSRC2:TGID_Y_EN: 0
; COMPUTE_PGM_RSRC2:TGID_Z_EN: 0
; COMPUTE_PGM_RSRC2:TIDIG_COMP_CNT: 0
	.section	.text._ZN4vllm23rotary_embedding_kernelIN3c104HalfENS1_8BFloat16ELb0EEEvPKlPT_S7_PKT0_illliiilb,"axG",@progbits,_ZN4vllm23rotary_embedding_kernelIN3c104HalfENS1_8BFloat16ELb0EEEvPKlPT_S7_PKT0_illliiilb,comdat
	.protected	_ZN4vllm23rotary_embedding_kernelIN3c104HalfENS1_8BFloat16ELb0EEEvPKlPT_S7_PKT0_illliiilb ; -- Begin function _ZN4vllm23rotary_embedding_kernelIN3c104HalfENS1_8BFloat16ELb0EEEvPKlPT_S7_PKT0_illliiilb
	.globl	_ZN4vllm23rotary_embedding_kernelIN3c104HalfENS1_8BFloat16ELb0EEEvPKlPT_S7_PKT0_illliiilb
	.p2align	8
	.type	_ZN4vllm23rotary_embedding_kernelIN3c104HalfENS1_8BFloat16ELb0EEEvPKlPT_S7_PKT0_illliiilb,@function
_ZN4vllm23rotary_embedding_kernelIN3c104HalfENS1_8BFloat16ELb0EEEvPKlPT_S7_PKT0_illliiilb: ; @_ZN4vllm23rotary_embedding_kernelIN3c104HalfENS1_8BFloat16ELb0EEEvPKlPT_S7_PKT0_illliiilb
; %bb.0:
	s_load_dword s25, s[4:5], 0x20
	s_load_dword s7, s[4:5], 0x58
	s_load_dwordx2 s[8:9], s[4:5], 0x0
	s_load_dwordx4 s[0:3], s[4:5], 0x10
	s_waitcnt lgkmcnt(0)
	s_ashr_i32 s24, s25, 31
	s_bitcmp1_b32 s7, 0
	s_cselect_b64 s[16:17], -1, 0
	s_ashr_i32 s7, s6, 31
	s_lshl_b64 s[10:11], s[6:7], 3
	s_add_u32 s20, s8, s10
	s_addc_u32 s21, s9, s11
	s_load_dwordx2 s[22:23], s[20:21], 0x0
	s_load_dwordx2 s[18:19], s[4:5], 0x50
	s_load_dwordx8 s[8:15], s[4:5], 0x28
	s_waitcnt lgkmcnt(0)
	s_mul_i32 s20, s22, s24
	s_mul_hi_u32 s21, s22, s25
	s_add_i32 s20, s21, s20
	s_mul_i32 s21, s23, s25
	s_add_i32 s21, s20, s21
	s_mul_i32 s20, s22, s25
	s_lshl_b64 s[20:21], s[20:21], 1
	s_add_u32 s22, s2, s20
	s_addc_u32 s24, s3, s21
	s_lshr_b32 s2, s25, 31
	s_add_i32 s25, s25, s2
	s_ashr_i32 s2, s25, 1
	s_ashr_i32 s3, s2, 31
	s_lshl_b64 s[20:21], s[2:3], 1
	s_add_u32 s23, s22, s20
	s_mul_i32 s14, s14, s2
	s_addc_u32 s25, s24, s21
	v_cmp_gt_i32_e32 vcc, s14, v0
	s_and_saveexec_b64 s[20:21], vcc
	s_cbranch_execz .LBB11_3
; %bb.1:
	s_load_dwordx2 s[26:27], s[4:5], 0x8
	s_mul_i32 s28, s8, s7
	s_mul_hi_u32 s29, s8, s6
	s_add_i32 s28, s29, s28
	s_mul_i32 s9, s9, s6
	s_add_i32 s9, s28, s9
	s_mul_i32 s8, s8, s6
	s_lshl_b64 s[8:9], s[8:9], 1
	s_load_dword s28, s[4:5], 0x6c
	s_waitcnt lgkmcnt(0)
	s_add_u32 s26, s26, s8
	s_addc_u32 s27, s27, s9
	s_lshl_b64 s[8:9], s[18:19], 1
	s_add_u32 s26, s26, s8
	s_addc_u32 s33, s27, s9
	s_abs_i32 s27, s2
	v_cvt_f32_u32_e32 v1, s27
	s_sub_i32 s29, 0, s27
	s_and_b32 s28, s28, 0xffff
	s_lshl_b32 s30, s2, 1
	v_rcp_iflag_f32_e32 v1, v1
	s_mov_b64 s[8:9], 0
	s_sub_i32 s30, 0, s30
	s_lshl_b32 s31, s28, 1
	v_mul_f32_e32 v1, 0x4f7ffffe, v1
	v_cvt_u32_f32_e32 v2, v1
	v_lshlrev_b32_e32 v1, 1, v0
	v_mov_b32_e32 v5, s24
	v_mov_b32_e32 v6, s25
	v_mul_lo_u32 v3, s29, v2
	s_sub_i32 s29, 0, s2
	v_mul_hi_u32 v4, v2, v3
	v_mov_b32_e32 v3, s33
	v_add_u32_e32 v4, v2, v4
	v_mov_b32_e32 v2, v0
.LBB11_2:                               ; =>This Inner Loop Header: Depth=1
	v_sub_u32_e32 v8, 0, v2
	v_max_i32_e32 v8, v2, v8
	v_mul_hi_u32 v9, v8, v4
	v_ashrrev_i32_e32 v7, 31, v2
	v_xor_b32_e32 v7, s3, v7
	v_mul_lo_u32 v10, v9, s27
	v_add_u32_e32 v11, 1, v9
	v_sub_u32_e32 v8, v8, v10
	v_cmp_le_u32_e32 vcc, s27, v8
	v_subrev_u32_e32 v10, s27, v8
	v_cndmask_b32_e32 v9, v9, v11, vcc
	v_cndmask_b32_e32 v8, v8, v10, vcc
	v_add_u32_e32 v10, 1, v9
	v_cmp_le_u32_e32 vcc, s27, v8
	v_cndmask_b32_e32 v8, v9, v10, vcc
	v_xor_b32_e32 v8, v8, v7
	v_sub_u32_e32 v11, v8, v7
	v_mad_u64_u32 v[9:10], s[34:35], s29, v11, v[2:3]
	v_ashrrev_i32_e32 v13, 31, v11
	v_mul_lo_u32 v14, s13, v11
	v_mad_u64_u32 v[7:8], s[34:35], s12, v11, 0
	v_mul_lo_u32 v13, s12, v13
	v_ashrrev_i32_e32 v10, 31, v9
	v_lshlrev_b64 v[9:10], 1, v[9:10]
	v_mad_u64_u32 v[11:12], s[34:35], s30, v11, v[1:2]
	v_add3_u32 v8, v8, v13, v14
	v_add_co_u32_e32 v13, vcc, s22, v9
	v_addc_co_u32_e32 v14, vcc, v5, v10, vcc
	v_lshlrev_b64 v[7:8], 1, v[7:8]
	v_add_co_u32_e32 v9, vcc, s23, v9
	v_ashrrev_i32_e32 v12, 31, v11
	v_addc_co_u32_e32 v10, vcc, v6, v10, vcc
	v_lshlrev_b64 v[11:12], 1, v[11:12]
	v_add_co_u32_e32 v7, vcc, s26, v7
	v_addc_co_u32_e32 v8, vcc, v3, v8, vcc
	v_add_co_u32_e32 v7, vcc, v7, v11
	v_addc_co_u32_e32 v8, vcc, v8, v12, vcc
	global_load_ushort v13, v[13:14], off
	s_nop 0
	global_load_dword v11, v[7:8], off
	global_load_ushort v12, v[9:10], off
	v_add_u32_e32 v2, s28, v2
	v_cmp_le_i32_e32 vcc, s14, v2
	v_add_u32_e32 v1, s31, v1
	s_or_b64 s[8:9], vcc, s[8:9]
	s_waitcnt vmcnt(2)
	v_lshlrev_b32_e32 v9, 16, v13
	s_waitcnt vmcnt(0)
	v_lshlrev_b32_e32 v10, 16, v12
	v_cvt_f32_f16_sdwa v12, v11 dst_sel:DWORD dst_unused:UNUSED_PAD src0_sel:WORD_1
	v_cvt_f32_f16_e32 v13, v11
	v_cndmask_b32_e64 v10, v10, -v10, s[16:17]
	v_mul_f32_e32 v12, v10, v12
	v_mul_f32_e32 v10, v10, v13
	v_fma_mixlo_f16 v12, v11, v9, -v12 op_sel_hi:[1,0,0]
	v_fma_mixhi_f16 v12, v9, v11, v10 op_sel:[0,1,0] op_sel_hi:[0,1,0]
	global_store_dword v[7:8], v12, off
	s_andn2_b64 exec, exec, s[8:9]
	s_cbranch_execnz .LBB11_2
.LBB11_3:
	s_or_b64 exec, exec, s[20:21]
	s_cmp_lg_u64 s[0:1], 0
	s_cbranch_scc0 .LBB11_7
; %bb.4:
	s_mul_i32 s8, s15, s2
	v_cmp_gt_i32_e32 vcc, s8, v0
	s_and_saveexec_b64 s[14:15], vcc
	s_cbranch_execz .LBB11_7
; %bb.5:
	s_mul_i32 s7, s10, s7
	s_mul_hi_u32 s9, s10, s6
	s_add_i32 s7, s9, s7
	s_mul_i32 s9, s11, s6
	s_add_i32 s7, s7, s9
	s_mul_i32 s6, s10, s6
	s_lshl_b64 s[6:7], s[6:7], 1
	s_add_u32 s6, s0, s6
	s_addc_u32 s7, s1, s7
	s_lshl_b64 s[0:1], s[18:19], 1
	s_add_u32 s6, s6, s0
	s_addc_u32 s10, s7, s1
	s_abs_i32 s7, s2
	v_cvt_f32_u32_e32 v1, s7
	s_load_dword s4, s[4:5], 0x6c
	s_sub_i32 s5, 0, s7
	s_mov_b64 s[0:1], 0
	v_rcp_iflag_f32_e32 v1, v1
	v_mov_b32_e32 v5, s25
	s_waitcnt lgkmcnt(0)
	s_and_b32 s4, s4, 0xffff
	s_lshl_b32 s9, s4, 1
	v_mul_f32_e32 v1, 0x4f7ffffe, v1
	v_cvt_u32_f32_e32 v3, v1
	v_lshlrev_b32_e32 v1, 1, v0
	v_mul_lo_u32 v2, s5, v3
	s_sub_i32 s5, 0, s2
	s_lshl_b32 s2, s2, 1
	s_sub_i32 s2, 0, s2
	v_mul_hi_u32 v4, v3, v2
	v_mov_b32_e32 v2, s10
	v_add_u32_e32 v3, v3, v4
	v_mov_b32_e32 v4, s24
.LBB11_6:                               ; =>This Inner Loop Header: Depth=1
	v_sub_u32_e32 v7, 0, v0
	v_max_i32_e32 v7, v0, v7
	v_mul_hi_u32 v8, v7, v3
	v_ashrrev_i32_e32 v6, 31, v0
	v_xor_b32_e32 v6, s3, v6
	v_mul_lo_u32 v9, v8, s7
	v_add_u32_e32 v10, 1, v8
	v_sub_u32_e32 v7, v7, v9
	v_cmp_le_u32_e32 vcc, s7, v7
	v_subrev_u32_e32 v9, s7, v7
	v_cndmask_b32_e32 v8, v8, v10, vcc
	v_cndmask_b32_e32 v7, v7, v9, vcc
	v_add_u32_e32 v9, 1, v8
	v_cmp_le_u32_e32 vcc, s7, v7
	v_cndmask_b32_e32 v7, v8, v9, vcc
	v_xor_b32_e32 v7, v7, v6
	v_sub_u32_e32 v10, v7, v6
	v_mad_u64_u32 v[8:9], s[10:11], s5, v10, v[0:1]
	v_ashrrev_i32_e32 v12, 31, v10
	v_mul_lo_u32 v13, s13, v10
	v_mad_u64_u32 v[6:7], s[10:11], s12, v10, 0
	v_mul_lo_u32 v12, s12, v12
	v_ashrrev_i32_e32 v9, 31, v8
	v_lshlrev_b64 v[8:9], 1, v[8:9]
	v_mad_u64_u32 v[10:11], s[10:11], s2, v10, v[1:2]
	v_add3_u32 v7, v7, v12, v13
	v_add_co_u32_e32 v12, vcc, s22, v8
	v_addc_co_u32_e32 v13, vcc, v4, v9, vcc
	v_lshlrev_b64 v[6:7], 1, v[6:7]
	v_add_co_u32_e32 v8, vcc, s23, v8
	v_ashrrev_i32_e32 v11, 31, v10
	v_addc_co_u32_e32 v9, vcc, v5, v9, vcc
	v_lshlrev_b64 v[10:11], 1, v[10:11]
	v_add_co_u32_e32 v6, vcc, s6, v6
	v_addc_co_u32_e32 v7, vcc, v2, v7, vcc
	v_add_co_u32_e32 v6, vcc, v6, v10
	v_addc_co_u32_e32 v7, vcc, v7, v11, vcc
	global_load_ushort v12, v[12:13], off
	s_nop 0
	global_load_dword v10, v[6:7], off
	global_load_ushort v11, v[8:9], off
	v_add_u32_e32 v0, s4, v0
	v_cmp_le_i32_e32 vcc, s8, v0
	v_add_u32_e32 v1, s9, v1
	s_or_b64 s[0:1], vcc, s[0:1]
	s_waitcnt vmcnt(2)
	v_lshlrev_b32_e32 v8, 16, v12
	s_waitcnt vmcnt(0)
	v_lshlrev_b32_e32 v9, 16, v11
	v_cvt_f32_f16_sdwa v11, v10 dst_sel:DWORD dst_unused:UNUSED_PAD src0_sel:WORD_1
	v_cvt_f32_f16_e32 v12, v10
	v_cndmask_b32_e64 v9, v9, -v9, s[16:17]
	v_mul_f32_e32 v11, v9, v11
	v_mul_f32_e32 v9, v9, v12
	v_fma_mixlo_f16 v11, v10, v8, -v11 op_sel_hi:[1,0,0]
	v_fma_mixhi_f16 v11, v8, v10, v9 op_sel:[0,1,0] op_sel_hi:[0,1,0]
	global_store_dword v[6:7], v11, off
	s_andn2_b64 exec, exec, s[0:1]
	s_cbranch_execnz .LBB11_6
.LBB11_7:
	s_endpgm
	.section	.rodata,"a",@progbits
	.p2align	6, 0x0
	.amdhsa_kernel _ZN4vllm23rotary_embedding_kernelIN3c104HalfENS1_8BFloat16ELb0EEEvPKlPT_S7_PKT0_illliiilb
		.amdhsa_group_segment_fixed_size 0
		.amdhsa_private_segment_fixed_size 0
		.amdhsa_kernarg_size 352
		.amdhsa_user_sgpr_count 6
		.amdhsa_user_sgpr_private_segment_buffer 1
		.amdhsa_user_sgpr_dispatch_ptr 0
		.amdhsa_user_sgpr_queue_ptr 0
		.amdhsa_user_sgpr_kernarg_segment_ptr 1
		.amdhsa_user_sgpr_dispatch_id 0
		.amdhsa_user_sgpr_flat_scratch_init 0
		.amdhsa_user_sgpr_private_segment_size 0
		.amdhsa_uses_dynamic_stack 0
		.amdhsa_system_sgpr_private_segment_wavefront_offset 0
		.amdhsa_system_sgpr_workgroup_id_x 1
		.amdhsa_system_sgpr_workgroup_id_y 0
		.amdhsa_system_sgpr_workgroup_id_z 0
		.amdhsa_system_sgpr_workgroup_info 0
		.amdhsa_system_vgpr_workitem_id 0
		.amdhsa_next_free_vgpr 15
		.amdhsa_next_free_sgpr 36
		.amdhsa_reserve_vcc 1
		.amdhsa_reserve_flat_scratch 0
		.amdhsa_float_round_mode_32 0
		.amdhsa_float_round_mode_16_64 0
		.amdhsa_float_denorm_mode_32 3
		.amdhsa_float_denorm_mode_16_64 3
		.amdhsa_dx10_clamp 1
		.amdhsa_ieee_mode 1
		.amdhsa_fp16_overflow 0
		.amdhsa_exception_fp_ieee_invalid_op 0
		.amdhsa_exception_fp_denorm_src 0
		.amdhsa_exception_fp_ieee_div_zero 0
		.amdhsa_exception_fp_ieee_overflow 0
		.amdhsa_exception_fp_ieee_underflow 0
		.amdhsa_exception_fp_ieee_inexact 0
		.amdhsa_exception_int_div_zero 0
	.end_amdhsa_kernel
	.section	.text._ZN4vllm23rotary_embedding_kernelIN3c104HalfENS1_8BFloat16ELb0EEEvPKlPT_S7_PKT0_illliiilb,"axG",@progbits,_ZN4vllm23rotary_embedding_kernelIN3c104HalfENS1_8BFloat16ELb0EEEvPKlPT_S7_PKT0_illliiilb,comdat
.Lfunc_end11:
	.size	_ZN4vllm23rotary_embedding_kernelIN3c104HalfENS1_8BFloat16ELb0EEEvPKlPT_S7_PKT0_illliiilb, .Lfunc_end11-_ZN4vllm23rotary_embedding_kernelIN3c104HalfENS1_8BFloat16ELb0EEEvPKlPT_S7_PKT0_illliiilb
                                        ; -- End function
	.set _ZN4vllm23rotary_embedding_kernelIN3c104HalfENS1_8BFloat16ELb0EEEvPKlPT_S7_PKT0_illliiilb.num_vgpr, 15
	.set _ZN4vllm23rotary_embedding_kernelIN3c104HalfENS1_8BFloat16ELb0EEEvPKlPT_S7_PKT0_illliiilb.num_agpr, 0
	.set _ZN4vllm23rotary_embedding_kernelIN3c104HalfENS1_8BFloat16ELb0EEEvPKlPT_S7_PKT0_illliiilb.numbered_sgpr, 36
	.set _ZN4vllm23rotary_embedding_kernelIN3c104HalfENS1_8BFloat16ELb0EEEvPKlPT_S7_PKT0_illliiilb.num_named_barrier, 0
	.set _ZN4vllm23rotary_embedding_kernelIN3c104HalfENS1_8BFloat16ELb0EEEvPKlPT_S7_PKT0_illliiilb.private_seg_size, 0
	.set _ZN4vllm23rotary_embedding_kernelIN3c104HalfENS1_8BFloat16ELb0EEEvPKlPT_S7_PKT0_illliiilb.uses_vcc, 1
	.set _ZN4vllm23rotary_embedding_kernelIN3c104HalfENS1_8BFloat16ELb0EEEvPKlPT_S7_PKT0_illliiilb.uses_flat_scratch, 0
	.set _ZN4vllm23rotary_embedding_kernelIN3c104HalfENS1_8BFloat16ELb0EEEvPKlPT_S7_PKT0_illliiilb.has_dyn_sized_stack, 0
	.set _ZN4vllm23rotary_embedding_kernelIN3c104HalfENS1_8BFloat16ELb0EEEvPKlPT_S7_PKT0_illliiilb.has_recursion, 0
	.set _ZN4vllm23rotary_embedding_kernelIN3c104HalfENS1_8BFloat16ELb0EEEvPKlPT_S7_PKT0_illliiilb.has_indirect_call, 0
	.section	.AMDGPU.csdata,"",@progbits
; Kernel info:
; codeLenInByte = 1144
; TotalNumSgprs: 40
; NumVgprs: 15
; ScratchSize: 0
; MemoryBound: 0
; FloatMode: 240
; IeeeMode: 1
; LDSByteSize: 0 bytes/workgroup (compile time only)
; SGPRBlocks: 4
; VGPRBlocks: 3
; NumSGPRsForWavesPerEU: 40
; NumVGPRsForWavesPerEU: 15
; Occupancy: 10
; WaveLimiterHint : 1
; COMPUTE_PGM_RSRC2:SCRATCH_EN: 0
; COMPUTE_PGM_RSRC2:USER_SGPR: 6
; COMPUTE_PGM_RSRC2:TRAP_HANDLER: 0
; COMPUTE_PGM_RSRC2:TGID_X_EN: 1
; COMPUTE_PGM_RSRC2:TGID_Y_EN: 0
; COMPUTE_PGM_RSRC2:TGID_Z_EN: 0
; COMPUTE_PGM_RSRC2:TIDIG_COMP_CNT: 0
	.section	.text._ZN4vllm23rotary_embedding_kernelIN3c108BFloat16EfLb1EEEvPKlPT_S6_PKT0_illliiilb,"axG",@progbits,_ZN4vllm23rotary_embedding_kernelIN3c108BFloat16EfLb1EEEvPKlPT_S6_PKT0_illliiilb,comdat
	.protected	_ZN4vllm23rotary_embedding_kernelIN3c108BFloat16EfLb1EEEvPKlPT_S6_PKT0_illliiilb ; -- Begin function _ZN4vllm23rotary_embedding_kernelIN3c108BFloat16EfLb1EEEvPKlPT_S6_PKT0_illliiilb
	.globl	_ZN4vllm23rotary_embedding_kernelIN3c108BFloat16EfLb1EEEvPKlPT_S6_PKT0_illliiilb
	.p2align	8
	.type	_ZN4vllm23rotary_embedding_kernelIN3c108BFloat16EfLb1EEEvPKlPT_S6_PKT0_illliiilb,@function
_ZN4vllm23rotary_embedding_kernelIN3c108BFloat16EfLb1EEEvPKlPT_S6_PKT0_illliiilb: ; @_ZN4vllm23rotary_embedding_kernelIN3c108BFloat16EfLb1EEEvPKlPT_S6_PKT0_illliiilb
; %bb.0:
	s_load_dword s24, s[4:5], 0x20
	s_load_dword s2, s[4:5], 0x58
	s_load_dwordx2 s[0:1], s[4:5], 0x0
	s_load_dwordx4 s[16:19], s[4:5], 0x10
	s_waitcnt lgkmcnt(0)
	s_ashr_i32 s25, s24, 31
	s_bitcmp1_b32 s2, 0
	s_cselect_b64 s[2:3], -1, 0
	s_ashr_i32 s7, s6, 31
	s_lshl_b64 s[8:9], s[6:7], 3
	s_add_u32 s0, s0, s8
	s_addc_u32 s1, s1, s9
	s_load_dwordx2 s[22:23], s[0:1], 0x0
	s_load_dwordx2 s[20:21], s[4:5], 0x50
	s_load_dwordx8 s[8:15], s[4:5], 0x28
	s_waitcnt lgkmcnt(0)
	s_mul_i32 s0, s22, s25
	s_mul_hi_u32 s1, s22, s24
	s_add_i32 s0, s1, s0
	s_mul_i32 s1, s23, s24
	s_add_i32 s1, s0, s1
	s_mul_i32 s0, s22, s24
	s_lshl_b64 s[0:1], s[0:1], 2
	s_add_u32 s26, s18, s0
	s_addc_u32 s28, s19, s1
	s_lshr_b32 s0, s24, 31
	s_add_i32 s24, s24, s0
	s_ashr_i32 s18, s24, 1
	s_ashr_i32 s19, s18, 31
	s_lshl_b64 s[0:1], s[18:19], 2
	s_add_u32 s27, s26, s0
	s_mul_i32 s14, s14, s18
	s_addc_u32 s29, s28, s1
	v_cmp_gt_i32_e32 vcc, s14, v0
	s_and_saveexec_b64 s[22:23], vcc
	s_cbranch_execz .LBB12_3
; %bb.1:
	s_load_dwordx2 s[0:1], s[4:5], 0x8
	s_mul_i32 s24, s8, s7
	s_mul_hi_u32 s25, s8, s6
	s_add_i32 s24, s25, s24
	s_mul_i32 s9, s9, s6
	s_add_i32 s9, s24, s9
	s_mul_i32 s8, s8, s6
	s_lshl_b64 s[8:9], s[8:9], 1
	s_load_dword s24, s[4:5], 0x6c
	s_waitcnt lgkmcnt(0)
	s_add_u32 s8, s0, s8
	s_addc_u32 s9, s1, s9
	s_lshl_b64 s[0:1], s[20:21], 1
	s_add_u32 s30, s8, s0
	s_addc_u32 s0, s9, s1
	s_abs_i32 s31, s18
	v_cvt_f32_u32_e32 v1, s31
	s_sub_i32 s1, 0, s31
	s_and_b32 s34, s24, 0xffff
	s_lshl_b64 s[24:25], s[18:19], 1
	v_rcp_iflag_f32_e32 v1, v1
	s_mov_b64 s[8:9], 0
	v_mov_b32_e32 v2, s28
	v_mov_b32_e32 v3, s29
	v_mul_f32_e32 v1, 0x4f7ffffe, v1
	v_cvt_u32_f32_e32 v1, v1
	s_movk_i32 s33, 0x7fff
	s_ashr_i32 s35, s18, 31
	s_sub_i32 s36, 0, s18
	v_mul_lo_u32 v4, s1, v1
	v_mov_b32_e32 v6, 0x7fc0
	v_mov_b32_e32 v7, s25
	v_mul_hi_u32 v5, v1, v4
	v_mov_b32_e32 v4, s0
	v_add_u32_e32 v5, v1, v5
	v_mov_b32_e32 v1, v0
.LBB12_2:                               ; =>This Inner Loop Header: Depth=1
	v_sub_u32_e32 v9, 0, v1
	v_max_i32_e32 v9, v1, v9
	v_mul_hi_u32 v10, v9, v5
	v_ashrrev_i32_e32 v8, 31, v1
	v_xor_b32_e32 v8, s35, v8
	v_mul_lo_u32 v11, v10, s31
	v_add_u32_e32 v12, 1, v10
	v_sub_u32_e32 v9, v9, v11
	v_cmp_le_u32_e32 vcc, s31, v9
	v_subrev_u32_e32 v11, s31, v9
	v_cndmask_b32_e32 v10, v10, v12, vcc
	v_cndmask_b32_e32 v9, v9, v11, vcc
	v_add_u32_e32 v11, 1, v10
	v_cmp_le_u32_e32 vcc, s31, v9
	v_cndmask_b32_e32 v9, v10, v11, vcc
	v_xor_b32_e32 v9, v9, v8
	v_sub_u32_e32 v10, v9, v8
	v_ashrrev_i32_e32 v12, 31, v10
	v_mul_lo_u32 v13, s13, v10
	v_mad_u64_u32 v[8:9], s[0:1], s12, v10, 0
	v_mad_u64_u32 v[10:11], s[0:1], s36, v10, v[1:2]
	v_mul_lo_u32 v12, s12, v12
	v_add_u32_e32 v1, s34, v1
	v_ashrrev_i32_e32 v11, 31, v10
	v_add3_u32 v9, v9, v12, v13
	v_lshlrev_b64 v[12:13], 2, v[10:11]
	v_lshlrev_b64 v[8:9], 1, v[8:9]
	v_add_co_u32_e32 v14, vcc, s26, v12
	v_addc_co_u32_e32 v15, vcc, v2, v13, vcc
	v_add_co_u32_e32 v12, vcc, s27, v12
	v_addc_co_u32_e32 v13, vcc, v3, v13, vcc
	v_lshlrev_b64 v[10:11], 1, v[10:11]
	v_add_co_u32_e32 v8, vcc, s30, v8
	v_addc_co_u32_e32 v9, vcc, v4, v9, vcc
	v_add_co_u32_e32 v8, vcc, v8, v10
	v_addc_co_u32_e32 v9, vcc, v9, v11, vcc
	v_add_co_u32_e32 v10, vcc, s24, v8
	global_load_dword v16, v[14:15], off
	global_load_dword v17, v[12:13], off
	v_addc_co_u32_e32 v11, vcc, v9, v7, vcc
	global_load_ushort v12, v[8:9], off
	global_load_ushort v13, v[10:11], off
	v_cmp_le_i32_e32 vcc, s14, v1
	s_or_b64 s[8:9], vcc, s[8:9]
	s_waitcnt vmcnt(2)
	v_cndmask_b32_e64 v14, v17, -v17, s[2:3]
	s_waitcnt vmcnt(1)
	v_lshlrev_b32_e32 v12, 16, v12
	s_waitcnt vmcnt(0)
	v_lshlrev_b32_e32 v13, 16, v13
	v_mul_f32_e32 v15, v14, v13
	v_mul_f32_e32 v13, v16, v13
	v_fma_f32 v15, v16, v12, -v15
	v_fmac_f32_e32 v13, v14, v12
	v_bfe_u32 v12, v15, 16, 1
	v_cmp_o_f32_e32 vcc, v15, v15
	v_bfe_u32 v14, v13, 16, 1
	v_cmp_o_f32_e64 s[0:1], v13, v13
	v_add3_u32 v12, v15, v12, s33
	v_add3_u32 v13, v13, v14, s33
	v_cndmask_b32_sdwa v12, v6, v12, vcc dst_sel:DWORD dst_unused:UNUSED_PAD src0_sel:DWORD src1_sel:WORD_1
	s_mov_b64 vcc, s[0:1]
	global_store_short v[8:9], v12, off
	v_cndmask_b32_sdwa v8, v6, v13, vcc dst_sel:DWORD dst_unused:UNUSED_PAD src0_sel:DWORD src1_sel:WORD_1
	global_store_short v[10:11], v8, off
	s_andn2_b64 exec, exec, s[8:9]
	s_cbranch_execnz .LBB12_2
.LBB12_3:
	s_or_b64 exec, exec, s[22:23]
	s_cmp_lg_u64 s[16:17], 0
	s_cbranch_scc0 .LBB12_7
; %bb.4:
	s_mul_i32 s8, s15, s18
	v_cmp_gt_i32_e32 vcc, s8, v0
	s_and_saveexec_b64 s[0:1], vcc
	s_cbranch_execz .LBB12_7
; %bb.5:
	s_mul_i32 s0, s10, s7
	s_mul_hi_u32 s1, s10, s6
	s_add_i32 s0, s1, s0
	s_mul_i32 s1, s11, s6
	s_add_i32 s1, s0, s1
	s_mul_i32 s0, s10, s6
	s_lshl_b64 s[0:1], s[0:1], 1
	s_add_u32 s6, s16, s0
	s_addc_u32 s7, s17, s1
	s_lshl_b64 s[0:1], s[20:21], 1
	s_add_u32 s9, s6, s0
	s_addc_u32 s0, s7, s1
	s_abs_i32 s10, s18
	v_cvt_f32_u32_e32 v1, s10
	s_sub_i32 s6, 0, s10
	s_load_dword s1, s[4:5], 0x6c
	s_mov_b64 s[4:5], 0
	v_rcp_iflag_f32_e32 v1, v1
	v_mov_b32_e32 v2, s29
	s_ashr_i32 s14, s18, 31
	s_waitcnt lgkmcnt(0)
	s_and_b32 s11, s1, 0xffff
	v_mul_f32_e32 v1, 0x4f7ffffe, v1
	v_cvt_u32_f32_e32 v4, v1
	v_mov_b32_e32 v1, s28
	s_sub_i32 s15, 0, s18
	v_mov_b32_e32 v6, 0x7fc0
	v_mul_lo_u32 v3, s6, v4
	s_lshl_b64 s[6:7], s[18:19], 1
	v_mul_hi_u32 v5, v4, v3
	v_mov_b32_e32 v3, s0
	v_add_u32_e32 v4, v4, v5
	v_mov_b32_e32 v5, s7
	s_movk_i32 s7, 0x7fff
.LBB12_6:                               ; =>This Inner Loop Header: Depth=1
	v_sub_u32_e32 v8, 0, v0
	v_max_i32_e32 v8, v0, v8
	v_mul_hi_u32 v9, v8, v4
	v_ashrrev_i32_e32 v7, 31, v0
	v_xor_b32_e32 v7, s14, v7
	v_mul_lo_u32 v10, v9, s10
	v_add_u32_e32 v11, 1, v9
	v_sub_u32_e32 v8, v8, v10
	v_cmp_le_u32_e32 vcc, s10, v8
	v_subrev_u32_e32 v10, s10, v8
	v_cndmask_b32_e32 v9, v9, v11, vcc
	v_cndmask_b32_e32 v8, v8, v10, vcc
	v_add_u32_e32 v10, 1, v9
	v_cmp_le_u32_e32 vcc, s10, v8
	v_cndmask_b32_e32 v8, v9, v10, vcc
	v_xor_b32_e32 v8, v8, v7
	v_sub_u32_e32 v9, v8, v7
	v_ashrrev_i32_e32 v11, 31, v9
	v_mul_lo_u32 v12, s13, v9
	v_mad_u64_u32 v[7:8], s[0:1], s12, v9, 0
	v_mad_u64_u32 v[9:10], s[0:1], s15, v9, v[0:1]
	v_mul_lo_u32 v11, s12, v11
	v_add_u32_e32 v0, s11, v0
	v_ashrrev_i32_e32 v10, 31, v9
	v_add3_u32 v8, v8, v11, v12
	v_lshlrev_b64 v[11:12], 2, v[9:10]
	v_lshlrev_b64 v[7:8], 1, v[7:8]
	v_add_co_u32_e32 v13, vcc, s26, v11
	v_addc_co_u32_e32 v14, vcc, v1, v12, vcc
	v_add_co_u32_e32 v11, vcc, s27, v11
	v_addc_co_u32_e32 v12, vcc, v2, v12, vcc
	v_lshlrev_b64 v[9:10], 1, v[9:10]
	v_add_co_u32_e32 v7, vcc, s9, v7
	v_addc_co_u32_e32 v8, vcc, v3, v8, vcc
	v_add_co_u32_e32 v7, vcc, v7, v9
	v_addc_co_u32_e32 v8, vcc, v8, v10, vcc
	v_add_co_u32_e32 v9, vcc, s6, v7
	global_load_dword v15, v[13:14], off
	global_load_dword v16, v[11:12], off
	v_addc_co_u32_e32 v10, vcc, v8, v5, vcc
	global_load_ushort v11, v[7:8], off
	global_load_ushort v12, v[9:10], off
	v_cmp_le_i32_e32 vcc, s8, v0
	s_or_b64 s[4:5], vcc, s[4:5]
	s_waitcnt vmcnt(2)
	v_cndmask_b32_e64 v13, v16, -v16, s[2:3]
	s_waitcnt vmcnt(1)
	v_lshlrev_b32_e32 v11, 16, v11
	s_waitcnt vmcnt(0)
	v_lshlrev_b32_e32 v12, 16, v12
	v_mul_f32_e32 v14, v13, v12
	v_mul_f32_e32 v12, v15, v12
	v_fma_f32 v14, v15, v11, -v14
	v_fmac_f32_e32 v12, v13, v11
	v_bfe_u32 v11, v14, 16, 1
	v_cmp_o_f32_e32 vcc, v14, v14
	v_bfe_u32 v13, v12, 16, 1
	v_cmp_o_f32_e64 s[0:1], v12, v12
	v_add3_u32 v11, v14, v11, s7
	v_add3_u32 v12, v12, v13, s7
	v_cndmask_b32_sdwa v11, v6, v11, vcc dst_sel:DWORD dst_unused:UNUSED_PAD src0_sel:DWORD src1_sel:WORD_1
	s_mov_b64 vcc, s[0:1]
	global_store_short v[7:8], v11, off
	v_cndmask_b32_sdwa v7, v6, v12, vcc dst_sel:DWORD dst_unused:UNUSED_PAD src0_sel:DWORD src1_sel:WORD_1
	global_store_short v[9:10], v7, off
	s_andn2_b64 exec, exec, s[4:5]
	s_cbranch_execnz .LBB12_6
.LBB12_7:
	s_endpgm
	.section	.rodata,"a",@progbits
	.p2align	6, 0x0
	.amdhsa_kernel _ZN4vllm23rotary_embedding_kernelIN3c108BFloat16EfLb1EEEvPKlPT_S6_PKT0_illliiilb
		.amdhsa_group_segment_fixed_size 0
		.amdhsa_private_segment_fixed_size 0
		.amdhsa_kernarg_size 352
		.amdhsa_user_sgpr_count 6
		.amdhsa_user_sgpr_private_segment_buffer 1
		.amdhsa_user_sgpr_dispatch_ptr 0
		.amdhsa_user_sgpr_queue_ptr 0
		.amdhsa_user_sgpr_kernarg_segment_ptr 1
		.amdhsa_user_sgpr_dispatch_id 0
		.amdhsa_user_sgpr_flat_scratch_init 0
		.amdhsa_user_sgpr_private_segment_size 0
		.amdhsa_uses_dynamic_stack 0
		.amdhsa_system_sgpr_private_segment_wavefront_offset 0
		.amdhsa_system_sgpr_workgroup_id_x 1
		.amdhsa_system_sgpr_workgroup_id_y 0
		.amdhsa_system_sgpr_workgroup_id_z 0
		.amdhsa_system_sgpr_workgroup_info 0
		.amdhsa_system_vgpr_workitem_id 0
		.amdhsa_next_free_vgpr 18
		.amdhsa_next_free_sgpr 37
		.amdhsa_reserve_vcc 1
		.amdhsa_reserve_flat_scratch 0
		.amdhsa_float_round_mode_32 0
		.amdhsa_float_round_mode_16_64 0
		.amdhsa_float_denorm_mode_32 3
		.amdhsa_float_denorm_mode_16_64 3
		.amdhsa_dx10_clamp 1
		.amdhsa_ieee_mode 1
		.amdhsa_fp16_overflow 0
		.amdhsa_exception_fp_ieee_invalid_op 0
		.amdhsa_exception_fp_denorm_src 0
		.amdhsa_exception_fp_ieee_div_zero 0
		.amdhsa_exception_fp_ieee_overflow 0
		.amdhsa_exception_fp_ieee_underflow 0
		.amdhsa_exception_fp_ieee_inexact 0
		.amdhsa_exception_int_div_zero 0
	.end_amdhsa_kernel
	.section	.text._ZN4vllm23rotary_embedding_kernelIN3c108BFloat16EfLb1EEEvPKlPT_S6_PKT0_illliiilb,"axG",@progbits,_ZN4vllm23rotary_embedding_kernelIN3c108BFloat16EfLb1EEEvPKlPT_S6_PKT0_illliiilb,comdat
.Lfunc_end12:
	.size	_ZN4vllm23rotary_embedding_kernelIN3c108BFloat16EfLb1EEEvPKlPT_S6_PKT0_illliiilb, .Lfunc_end12-_ZN4vllm23rotary_embedding_kernelIN3c108BFloat16EfLb1EEEvPKlPT_S6_PKT0_illliiilb
                                        ; -- End function
	.set _ZN4vllm23rotary_embedding_kernelIN3c108BFloat16EfLb1EEEvPKlPT_S6_PKT0_illliiilb.num_vgpr, 18
	.set _ZN4vllm23rotary_embedding_kernelIN3c108BFloat16EfLb1EEEvPKlPT_S6_PKT0_illliiilb.num_agpr, 0
	.set _ZN4vllm23rotary_embedding_kernelIN3c108BFloat16EfLb1EEEvPKlPT_S6_PKT0_illliiilb.numbered_sgpr, 37
	.set _ZN4vllm23rotary_embedding_kernelIN3c108BFloat16EfLb1EEEvPKlPT_S6_PKT0_illliiilb.num_named_barrier, 0
	.set _ZN4vllm23rotary_embedding_kernelIN3c108BFloat16EfLb1EEEvPKlPT_S6_PKT0_illliiilb.private_seg_size, 0
	.set _ZN4vllm23rotary_embedding_kernelIN3c108BFloat16EfLb1EEEvPKlPT_S6_PKT0_illliiilb.uses_vcc, 1
	.set _ZN4vllm23rotary_embedding_kernelIN3c108BFloat16EfLb1EEEvPKlPT_S6_PKT0_illliiilb.uses_flat_scratch, 0
	.set _ZN4vllm23rotary_embedding_kernelIN3c108BFloat16EfLb1EEEvPKlPT_S6_PKT0_illliiilb.has_dyn_sized_stack, 0
	.set _ZN4vllm23rotary_embedding_kernelIN3c108BFloat16EfLb1EEEvPKlPT_S6_PKT0_illliiilb.has_recursion, 0
	.set _ZN4vllm23rotary_embedding_kernelIN3c108BFloat16EfLb1EEEvPKlPT_S6_PKT0_illliiilb.has_indirect_call, 0
	.section	.AMDGPU.csdata,"",@progbits
; Kernel info:
; codeLenInByte = 1272
; TotalNumSgprs: 41
; NumVgprs: 18
; ScratchSize: 0
; MemoryBound: 0
; FloatMode: 240
; IeeeMode: 1
; LDSByteSize: 0 bytes/workgroup (compile time only)
; SGPRBlocks: 5
; VGPRBlocks: 4
; NumSGPRsForWavesPerEU: 41
; NumVGPRsForWavesPerEU: 18
; Occupancy: 10
; WaveLimiterHint : 1
; COMPUTE_PGM_RSRC2:SCRATCH_EN: 0
; COMPUTE_PGM_RSRC2:USER_SGPR: 6
; COMPUTE_PGM_RSRC2:TRAP_HANDLER: 0
; COMPUTE_PGM_RSRC2:TGID_X_EN: 1
; COMPUTE_PGM_RSRC2:TGID_Y_EN: 0
; COMPUTE_PGM_RSRC2:TGID_Z_EN: 0
; COMPUTE_PGM_RSRC2:TIDIG_COMP_CNT: 0
	.section	.text._ZN4vllm23rotary_embedding_kernelIN3c108BFloat16EfLb0EEEvPKlPT_S6_PKT0_illliiilb,"axG",@progbits,_ZN4vllm23rotary_embedding_kernelIN3c108BFloat16EfLb0EEEvPKlPT_S6_PKT0_illliiilb,comdat
	.protected	_ZN4vllm23rotary_embedding_kernelIN3c108BFloat16EfLb0EEEvPKlPT_S6_PKT0_illliiilb ; -- Begin function _ZN4vllm23rotary_embedding_kernelIN3c108BFloat16EfLb0EEEvPKlPT_S6_PKT0_illliiilb
	.globl	_ZN4vllm23rotary_embedding_kernelIN3c108BFloat16EfLb0EEEvPKlPT_S6_PKT0_illliiilb
	.p2align	8
	.type	_ZN4vllm23rotary_embedding_kernelIN3c108BFloat16EfLb0EEEvPKlPT_S6_PKT0_illliiilb,@function
_ZN4vllm23rotary_embedding_kernelIN3c108BFloat16EfLb0EEEvPKlPT_S6_PKT0_illliiilb: ; @_ZN4vllm23rotary_embedding_kernelIN3c108BFloat16EfLb0EEEvPKlPT_S6_PKT0_illliiilb
; %bb.0:
	s_load_dword s25, s[4:5], 0x20
	s_load_dword s2, s[4:5], 0x58
	s_load_dwordx2 s[0:1], s[4:5], 0x0
	s_load_dwordx4 s[16:19], s[4:5], 0x10
	s_waitcnt lgkmcnt(0)
	s_ashr_i32 s24, s25, 31
	s_bitcmp1_b32 s2, 0
	s_cselect_b64 s[2:3], -1, 0
	s_ashr_i32 s7, s6, 31
	s_lshl_b64 s[8:9], s[6:7], 3
	s_add_u32 s0, s0, s8
	s_addc_u32 s1, s1, s9
	s_load_dwordx2 s[22:23], s[0:1], 0x0
	s_load_dwordx2 s[20:21], s[4:5], 0x50
	s_load_dwordx8 s[8:15], s[4:5], 0x28
	s_waitcnt lgkmcnt(0)
	s_mul_i32 s0, s22, s24
	s_mul_hi_u32 s1, s22, s25
	s_add_i32 s0, s1, s0
	s_mul_i32 s1, s23, s25
	s_add_i32 s1, s0, s1
	s_mul_i32 s0, s22, s25
	s_lshl_b64 s[0:1], s[0:1], 2
	s_add_u32 s24, s18, s0
	s_addc_u32 s26, s19, s1
	s_lshr_b32 s0, s25, 31
	s_add_i32 s25, s25, s0
	s_ashr_i32 s18, s25, 1
	s_ashr_i32 s19, s18, 31
	s_lshl_b64 s[0:1], s[18:19], 2
	s_add_u32 s25, s24, s0
	s_mul_i32 s14, s14, s18
	s_addc_u32 s27, s26, s1
	v_cmp_gt_i32_e32 vcc, s14, v0
	s_and_saveexec_b64 s[22:23], vcc
	s_cbranch_execz .LBB13_3
; %bb.1:
	s_load_dwordx2 s[0:1], s[4:5], 0x8
	s_load_dword s30, s[4:5], 0x6c
	s_mul_i32 s28, s8, s7
	s_mul_hi_u32 s29, s8, s6
	s_add_i32 s28, s29, s28
	s_mul_i32 s9, s9, s6
	s_add_i32 s9, s28, s9
	s_mul_i32 s8, s8, s6
	s_lshl_b64 s[8:9], s[8:9], 1
	s_waitcnt lgkmcnt(0)
	s_add_u32 s8, s0, s8
	s_addc_u32 s9, s1, s9
	s_lshl_b64 s[0:1], s[20:21], 1
	s_add_u32 s28, s8, s0
	s_addc_u32 s0, s9, s1
	s_abs_i32 s29, s18
	v_cvt_f32_u32_e32 v1, s29
	s_sub_i32 s1, 0, s29
	s_and_b32 s30, s30, 0xffff
	s_mov_b64 s[8:9], 0
	v_rcp_iflag_f32_e32 v1, v1
	s_sub_i32 s31, 0, s18
	s_lshl_b32 s34, s30, 1
	v_mov_b32_e32 v5, s26
	v_mul_f32_e32 v1, 0x4f7ffffe, v1
	v_cvt_u32_f32_e32 v2, v1
	v_lshlrev_b32_e32 v1, 1, v0
	v_mov_b32_e32 v6, s27
	s_movk_i32 s35, 0x7fff
	v_mul_lo_u32 v3, s1, v2
	s_lshl_b32 s1, s18, 1
	s_sub_i32 s33, 0, s1
	v_mov_b32_e32 v7, 0x7fc0
	v_mul_hi_u32 v4, v2, v3
	v_mov_b32_e32 v3, s0
	s_mov_b32 s36, 0x5040100
	v_mov_b32_e32 v8, 1
	v_add_u32_e32 v4, v2, v4
	v_mov_b32_e32 v2, v0
.LBB13_2:                               ; =>This Inner Loop Header: Depth=1
	v_sub_u32_e32 v10, 0, v2
	v_max_i32_e32 v10, v2, v10
	v_mul_hi_u32 v11, v10, v4
	v_ashrrev_i32_e32 v9, 31, v2
	v_xor_b32_e32 v9, s19, v9
	v_mul_lo_u32 v12, v11, s29
	v_add_u32_e32 v13, 1, v11
	v_sub_u32_e32 v10, v10, v12
	v_cmp_le_u32_e32 vcc, s29, v10
	v_subrev_u32_e32 v12, s29, v10
	v_cndmask_b32_e32 v11, v11, v13, vcc
	v_cndmask_b32_e32 v10, v10, v12, vcc
	v_add_u32_e32 v12, 1, v11
	v_cmp_le_u32_e32 vcc, s29, v10
	v_cndmask_b32_e32 v10, v11, v12, vcc
	v_xor_b32_e32 v10, v10, v9
	v_sub_u32_e32 v13, v10, v9
	v_mad_u64_u32 v[11:12], s[0:1], s31, v13, v[2:3]
	v_ashrrev_i32_e32 v15, 31, v13
	v_mul_lo_u32 v16, s13, v13
	v_mad_u64_u32 v[9:10], s[0:1], s12, v13, 0
	v_mul_lo_u32 v15, s12, v15
	v_ashrrev_i32_e32 v12, 31, v11
	v_lshlrev_b64 v[11:12], 2, v[11:12]
	v_mad_u64_u32 v[13:14], s[0:1], s33, v13, v[1:2]
	v_add3_u32 v10, v10, v15, v16
	v_add_co_u32_e32 v15, vcc, s24, v11
	v_addc_co_u32_e32 v16, vcc, v5, v12, vcc
	v_lshlrev_b64 v[9:10], 1, v[9:10]
	v_add_co_u32_e32 v11, vcc, s25, v11
	v_ashrrev_i32_e32 v14, 31, v13
	v_addc_co_u32_e32 v12, vcc, v6, v12, vcc
	v_lshlrev_b64 v[13:14], 1, v[13:14]
	v_add_co_u32_e32 v9, vcc, s28, v9
	v_addc_co_u32_e32 v10, vcc, v3, v10, vcc
	v_add_co_u32_e32 v9, vcc, v9, v13
	v_addc_co_u32_e32 v10, vcc, v10, v14, vcc
	global_load_dword v17, v[15:16], off
	global_load_dword v18, v[11:12], off
	v_add_u32_e32 v2, s30, v2
	global_load_dword v11, v[9:10], off
	v_cmp_le_i32_e32 vcc, s14, v2
	s_or_b64 s[8:9], vcc, s[8:9]
	v_add_u32_e32 v1, s34, v1
	s_waitcnt vmcnt(1)
	v_cndmask_b32_e64 v12, v18, -v18, s[2:3]
	s_waitcnt vmcnt(0)
	v_lshlrev_b32_e32 v13, 16, v11
	v_and_b32_e32 v11, 0xffff0000, v11
	v_mul_f32_e32 v14, v17, v11
	v_mul_f32_e32 v11, v12, v11
	v_fma_f32 v11, v17, v13, -v11
	v_fmac_f32_e32 v14, v12, v13
	v_and_b32_sdwa v13, v11, v8 dst_sel:DWORD dst_unused:UNUSED_PAD src0_sel:WORD_1 src1_sel:DWORD
	v_and_b32_sdwa v12, v14, v8 dst_sel:DWORD dst_unused:UNUSED_PAD src0_sel:WORD_1 src1_sel:DWORD
	v_cmp_o_f32_e32 vcc, v11, v11
	v_cmp_o_f32_e64 s[0:1], v14, v14
	v_add3_u32 v11, v11, v13, s35
	v_add3_u32 v12, v14, v12, s35
	v_cndmask_b32_sdwa v11, v7, v11, vcc dst_sel:DWORD dst_unused:UNUSED_PAD src0_sel:DWORD src1_sel:WORD_1
	s_mov_b64 vcc, s[0:1]
	v_cndmask_b32_sdwa v12, v7, v12, vcc dst_sel:DWORD dst_unused:UNUSED_PAD src0_sel:DWORD src1_sel:WORD_1
	v_perm_b32 v11, v12, v11, s36
	global_store_dword v[9:10], v11, off
	s_andn2_b64 exec, exec, s[8:9]
	s_cbranch_execnz .LBB13_2
.LBB13_3:
	s_or_b64 exec, exec, s[22:23]
	s_cmp_lg_u64 s[16:17], 0
	s_cbranch_scc0 .LBB13_7
; %bb.4:
	s_mul_i32 s8, s15, s18
	v_cmp_gt_i32_e32 vcc, s8, v0
	s_and_saveexec_b64 s[0:1], vcc
	s_cbranch_execz .LBB13_7
; %bb.5:
	s_mul_i32 s0, s10, s7
	s_mul_hi_u32 s1, s10, s6
	s_add_i32 s0, s1, s0
	s_mul_i32 s1, s11, s6
	s_add_i32 s1, s0, s1
	s_mul_i32 s0, s10, s6
	s_lshl_b64 s[0:1], s[0:1], 1
	s_add_u32 s6, s16, s0
	s_addc_u32 s7, s17, s1
	s_lshl_b64 s[0:1], s[20:21], 1
	s_add_u32 s6, s6, s0
	s_addc_u32 s0, s7, s1
	s_abs_i32 s7, s18
	v_cvt_f32_u32_e32 v1, s7
	s_sub_i32 s9, 0, s7
	s_load_dword s1, s[4:5], 0x6c
	s_mov_b64 s[4:5], 0
	v_rcp_iflag_f32_e32 v1, v1
	s_sub_i32 s10, 0, s18
	v_mov_b32_e32 v5, s27
	s_movk_i32 s15, 0x7fff
	v_mul_f32_e32 v1, 0x4f7ffffe, v1
	v_cvt_u32_f32_e32 v3, v1
	v_lshlrev_b32_e32 v1, 1, v0
	v_mov_b32_e32 v6, 0x7fc0
	s_mov_b32 s16, 0x5040100
	v_mul_lo_u32 v2, s9, v3
	s_waitcnt lgkmcnt(0)
	s_and_b32 s9, s1, 0xffff
	s_lshl_b32 s1, s18, 1
	s_sub_i32 s11, 0, s1
	v_mul_hi_u32 v4, v3, v2
	s_lshl_b32 s14, s9, 1
	v_mov_b32_e32 v2, s0
	v_mov_b32_e32 v7, 1
	v_add_u32_e32 v3, v3, v4
	v_mov_b32_e32 v4, s26
.LBB13_6:                               ; =>This Inner Loop Header: Depth=1
	v_sub_u32_e32 v9, 0, v0
	v_max_i32_e32 v9, v0, v9
	v_mul_hi_u32 v10, v9, v3
	v_ashrrev_i32_e32 v8, 31, v0
	v_xor_b32_e32 v8, s19, v8
	v_mul_lo_u32 v11, v10, s7
	v_add_u32_e32 v12, 1, v10
	v_sub_u32_e32 v9, v9, v11
	v_cmp_le_u32_e32 vcc, s7, v9
	v_subrev_u32_e32 v11, s7, v9
	v_cndmask_b32_e32 v10, v10, v12, vcc
	v_cndmask_b32_e32 v9, v9, v11, vcc
	v_add_u32_e32 v11, 1, v10
	v_cmp_le_u32_e32 vcc, s7, v9
	v_cndmask_b32_e32 v9, v10, v11, vcc
	v_xor_b32_e32 v9, v9, v8
	v_sub_u32_e32 v12, v9, v8
	v_mad_u64_u32 v[10:11], s[0:1], s10, v12, v[0:1]
	v_ashrrev_i32_e32 v14, 31, v12
	v_mul_lo_u32 v15, s13, v12
	v_mad_u64_u32 v[8:9], s[0:1], s12, v12, 0
	v_mul_lo_u32 v14, s12, v14
	v_ashrrev_i32_e32 v11, 31, v10
	v_lshlrev_b64 v[10:11], 2, v[10:11]
	v_mad_u64_u32 v[12:13], s[0:1], s11, v12, v[1:2]
	v_add3_u32 v9, v9, v14, v15
	v_add_co_u32_e32 v14, vcc, s24, v10
	v_addc_co_u32_e32 v15, vcc, v4, v11, vcc
	v_lshlrev_b64 v[8:9], 1, v[8:9]
	v_add_co_u32_e32 v10, vcc, s25, v10
	v_ashrrev_i32_e32 v13, 31, v12
	v_addc_co_u32_e32 v11, vcc, v5, v11, vcc
	v_lshlrev_b64 v[12:13], 1, v[12:13]
	v_add_co_u32_e32 v8, vcc, s6, v8
	v_addc_co_u32_e32 v9, vcc, v2, v9, vcc
	v_add_co_u32_e32 v8, vcc, v8, v12
	v_addc_co_u32_e32 v9, vcc, v9, v13, vcc
	global_load_dword v16, v[14:15], off
	global_load_dword v17, v[10:11], off
	v_add_u32_e32 v0, s9, v0
	global_load_dword v10, v[8:9], off
	v_cmp_le_i32_e32 vcc, s8, v0
	s_or_b64 s[4:5], vcc, s[4:5]
	v_add_u32_e32 v1, s14, v1
	s_waitcnt vmcnt(1)
	v_cndmask_b32_e64 v11, v17, -v17, s[2:3]
	s_waitcnt vmcnt(0)
	v_lshlrev_b32_e32 v12, 16, v10
	v_and_b32_e32 v10, 0xffff0000, v10
	v_mul_f32_e32 v13, v16, v10
	v_mul_f32_e32 v10, v11, v10
	v_fma_f32 v10, v16, v12, -v10
	v_fmac_f32_e32 v13, v11, v12
	v_and_b32_sdwa v12, v10, v7 dst_sel:DWORD dst_unused:UNUSED_PAD src0_sel:WORD_1 src1_sel:DWORD
	v_and_b32_sdwa v11, v13, v7 dst_sel:DWORD dst_unused:UNUSED_PAD src0_sel:WORD_1 src1_sel:DWORD
	v_cmp_o_f32_e32 vcc, v10, v10
	v_cmp_o_f32_e64 s[0:1], v13, v13
	v_add3_u32 v10, v10, v12, s15
	v_add3_u32 v11, v13, v11, s15
	v_cndmask_b32_sdwa v10, v6, v10, vcc dst_sel:DWORD dst_unused:UNUSED_PAD src0_sel:DWORD src1_sel:WORD_1
	s_mov_b64 vcc, s[0:1]
	v_cndmask_b32_sdwa v11, v6, v11, vcc dst_sel:DWORD dst_unused:UNUSED_PAD src0_sel:DWORD src1_sel:WORD_1
	v_perm_b32 v10, v11, v10, s16
	global_store_dword v[8:9], v10, off
	s_andn2_b64 exec, exec, s[4:5]
	s_cbranch_execnz .LBB13_6
.LBB13_7:
	s_endpgm
	.section	.rodata,"a",@progbits
	.p2align	6, 0x0
	.amdhsa_kernel _ZN4vllm23rotary_embedding_kernelIN3c108BFloat16EfLb0EEEvPKlPT_S6_PKT0_illliiilb
		.amdhsa_group_segment_fixed_size 0
		.amdhsa_private_segment_fixed_size 0
		.amdhsa_kernarg_size 352
		.amdhsa_user_sgpr_count 6
		.amdhsa_user_sgpr_private_segment_buffer 1
		.amdhsa_user_sgpr_dispatch_ptr 0
		.amdhsa_user_sgpr_queue_ptr 0
		.amdhsa_user_sgpr_kernarg_segment_ptr 1
		.amdhsa_user_sgpr_dispatch_id 0
		.amdhsa_user_sgpr_flat_scratch_init 0
		.amdhsa_user_sgpr_private_segment_size 0
		.amdhsa_uses_dynamic_stack 0
		.amdhsa_system_sgpr_private_segment_wavefront_offset 0
		.amdhsa_system_sgpr_workgroup_id_x 1
		.amdhsa_system_sgpr_workgroup_id_y 0
		.amdhsa_system_sgpr_workgroup_id_z 0
		.amdhsa_system_sgpr_workgroup_info 0
		.amdhsa_system_vgpr_workitem_id 0
		.amdhsa_next_free_vgpr 19
		.amdhsa_next_free_sgpr 37
		.amdhsa_reserve_vcc 1
		.amdhsa_reserve_flat_scratch 0
		.amdhsa_float_round_mode_32 0
		.amdhsa_float_round_mode_16_64 0
		.amdhsa_float_denorm_mode_32 3
		.amdhsa_float_denorm_mode_16_64 3
		.amdhsa_dx10_clamp 1
		.amdhsa_ieee_mode 1
		.amdhsa_fp16_overflow 0
		.amdhsa_exception_fp_ieee_invalid_op 0
		.amdhsa_exception_fp_denorm_src 0
		.amdhsa_exception_fp_ieee_div_zero 0
		.amdhsa_exception_fp_ieee_overflow 0
		.amdhsa_exception_fp_ieee_underflow 0
		.amdhsa_exception_fp_ieee_inexact 0
		.amdhsa_exception_int_div_zero 0
	.end_amdhsa_kernel
	.section	.text._ZN4vllm23rotary_embedding_kernelIN3c108BFloat16EfLb0EEEvPKlPT_S6_PKT0_illliiilb,"axG",@progbits,_ZN4vllm23rotary_embedding_kernelIN3c108BFloat16EfLb0EEEvPKlPT_S6_PKT0_illliiilb,comdat
.Lfunc_end13:
	.size	_ZN4vllm23rotary_embedding_kernelIN3c108BFloat16EfLb0EEEvPKlPT_S6_PKT0_illliiilb, .Lfunc_end13-_ZN4vllm23rotary_embedding_kernelIN3c108BFloat16EfLb0EEEvPKlPT_S6_PKT0_illliiilb
                                        ; -- End function
	.set _ZN4vllm23rotary_embedding_kernelIN3c108BFloat16EfLb0EEEvPKlPT_S6_PKT0_illliiilb.num_vgpr, 19
	.set _ZN4vllm23rotary_embedding_kernelIN3c108BFloat16EfLb0EEEvPKlPT_S6_PKT0_illliiilb.num_agpr, 0
	.set _ZN4vllm23rotary_embedding_kernelIN3c108BFloat16EfLb0EEEvPKlPT_S6_PKT0_illliiilb.numbered_sgpr, 37
	.set _ZN4vllm23rotary_embedding_kernelIN3c108BFloat16EfLb0EEEvPKlPT_S6_PKT0_illliiilb.num_named_barrier, 0
	.set _ZN4vllm23rotary_embedding_kernelIN3c108BFloat16EfLb0EEEvPKlPT_S6_PKT0_illliiilb.private_seg_size, 0
	.set _ZN4vllm23rotary_embedding_kernelIN3c108BFloat16EfLb0EEEvPKlPT_S6_PKT0_illliiilb.uses_vcc, 1
	.set _ZN4vllm23rotary_embedding_kernelIN3c108BFloat16EfLb0EEEvPKlPT_S6_PKT0_illliiilb.uses_flat_scratch, 0
	.set _ZN4vllm23rotary_embedding_kernelIN3c108BFloat16EfLb0EEEvPKlPT_S6_PKT0_illliiilb.has_dyn_sized_stack, 0
	.set _ZN4vllm23rotary_embedding_kernelIN3c108BFloat16EfLb0EEEvPKlPT_S6_PKT0_illliiilb.has_recursion, 0
	.set _ZN4vllm23rotary_embedding_kernelIN3c108BFloat16EfLb0EEEvPKlPT_S6_PKT0_illliiilb.has_indirect_call, 0
	.section	.AMDGPU.csdata,"",@progbits
; Kernel info:
; codeLenInByte = 1304
; TotalNumSgprs: 41
; NumVgprs: 19
; ScratchSize: 0
; MemoryBound: 0
; FloatMode: 240
; IeeeMode: 1
; LDSByteSize: 0 bytes/workgroup (compile time only)
; SGPRBlocks: 5
; VGPRBlocks: 4
; NumSGPRsForWavesPerEU: 41
; NumVGPRsForWavesPerEU: 19
; Occupancy: 10
; WaveLimiterHint : 1
; COMPUTE_PGM_RSRC2:SCRATCH_EN: 0
; COMPUTE_PGM_RSRC2:USER_SGPR: 6
; COMPUTE_PGM_RSRC2:TRAP_HANDLER: 0
; COMPUTE_PGM_RSRC2:TGID_X_EN: 1
; COMPUTE_PGM_RSRC2:TGID_Y_EN: 0
; COMPUTE_PGM_RSRC2:TGID_Z_EN: 0
; COMPUTE_PGM_RSRC2:TIDIG_COMP_CNT: 0
	.section	.text._ZN4vllm23rotary_embedding_kernelIN3c108BFloat16ENS1_4HalfELb1EEEvPKlPT_S7_PKT0_illliiilb,"axG",@progbits,_ZN4vllm23rotary_embedding_kernelIN3c108BFloat16ENS1_4HalfELb1EEEvPKlPT_S7_PKT0_illliiilb,comdat
	.protected	_ZN4vllm23rotary_embedding_kernelIN3c108BFloat16ENS1_4HalfELb1EEEvPKlPT_S7_PKT0_illliiilb ; -- Begin function _ZN4vllm23rotary_embedding_kernelIN3c108BFloat16ENS1_4HalfELb1EEEvPKlPT_S7_PKT0_illliiilb
	.globl	_ZN4vllm23rotary_embedding_kernelIN3c108BFloat16ENS1_4HalfELb1EEEvPKlPT_S7_PKT0_illliiilb
	.p2align	8
	.type	_ZN4vllm23rotary_embedding_kernelIN3c108BFloat16ENS1_4HalfELb1EEEvPKlPT_S7_PKT0_illliiilb,@function
_ZN4vllm23rotary_embedding_kernelIN3c108BFloat16ENS1_4HalfELb1EEEvPKlPT_S7_PKT0_illliiilb: ; @_ZN4vllm23rotary_embedding_kernelIN3c108BFloat16ENS1_4HalfELb1EEEvPKlPT_S7_PKT0_illliiilb
; %bb.0:
	s_load_dword s24, s[4:5], 0x20
	s_load_dword s2, s[4:5], 0x58
	s_load_dwordx2 s[0:1], s[4:5], 0x0
	s_load_dwordx4 s[16:19], s[4:5], 0x10
	s_waitcnt lgkmcnt(0)
	s_ashr_i32 s25, s24, 31
	s_bitcmp1_b32 s2, 0
	s_cselect_b64 s[2:3], -1, 0
	s_ashr_i32 s7, s6, 31
	s_lshl_b64 s[8:9], s[6:7], 3
	s_add_u32 s0, s0, s8
	s_addc_u32 s1, s1, s9
	s_load_dwordx2 s[20:21], s[0:1], 0x0
	s_load_dwordx2 s[22:23], s[4:5], 0x50
	s_load_dwordx8 s[8:15], s[4:5], 0x28
	s_waitcnt lgkmcnt(0)
	s_mul_i32 s0, s20, s25
	s_mul_hi_u32 s1, s20, s24
	s_add_i32 s0, s1, s0
	s_mul_i32 s1, s21, s24
	s_add_i32 s1, s0, s1
	s_mul_i32 s0, s20, s24
	s_lshl_b64 s[0:1], s[0:1], 1
	s_add_u32 s26, s18, s0
	s_addc_u32 s27, s19, s1
	s_lshr_b32 s0, s24, 31
	s_add_i32 s24, s24, s0
	s_ashr_i32 s20, s24, 1
	s_ashr_i32 s21, s20, 31
	s_lshl_b64 s[18:19], s[20:21], 1
	s_add_u32 s21, s26, s18
	s_mul_i32 s14, s14, s20
	s_addc_u32 s28, s27, s19
	v_cmp_gt_i32_e32 vcc, s14, v0
	s_and_saveexec_b64 s[24:25], vcc
	s_cbranch_execz .LBB14_3
; %bb.1:
	s_load_dwordx2 s[0:1], s[4:5], 0x8
	s_load_dword s33, s[4:5], 0x6c
	s_mul_i32 s29, s8, s7
	s_mul_hi_u32 s30, s8, s6
	s_add_i32 s29, s30, s29
	s_mul_i32 s9, s9, s6
	s_add_i32 s9, s29, s9
	s_mul_i32 s8, s8, s6
	s_lshl_b64 s[8:9], s[8:9], 1
	s_waitcnt lgkmcnt(0)
	s_add_u32 s8, s0, s8
	s_addc_u32 s9, s1, s9
	s_lshl_b64 s[0:1], s[22:23], 1
	s_add_u32 s29, s8, s0
	s_addc_u32 s0, s9, s1
	s_abs_i32 s30, s20
	v_cvt_f32_u32_e32 v1, s30
	s_sub_i32 s1, 0, s30
	s_mov_b64 s[8:9], 0
	v_mov_b32_e32 v2, s27
	v_rcp_iflag_f32_e32 v1, v1
	v_mov_b32_e32 v3, s28
	s_movk_i32 s31, 0x7fff
	s_and_b32 s33, s33, 0xffff
	v_mul_f32_e32 v1, 0x4f7ffffe, v1
	v_cvt_u32_f32_e32 v1, v1
	s_ashr_i32 s34, s20, 31
	s_sub_i32 s35, 0, s20
	v_mov_b32_e32 v6, 0x7fc0
	v_mul_lo_u32 v4, s1, v1
	v_mov_b32_e32 v7, s19
	v_mul_hi_u32 v5, v1, v4
	v_mov_b32_e32 v4, s0
	v_add_u32_e32 v5, v1, v5
	v_mov_b32_e32 v1, v0
.LBB14_2:                               ; =>This Inner Loop Header: Depth=1
	v_sub_u32_e32 v9, 0, v1
	v_max_i32_e32 v9, v1, v9
	v_mul_hi_u32 v10, v9, v5
	v_ashrrev_i32_e32 v8, 31, v1
	v_xor_b32_e32 v8, s34, v8
	v_mul_lo_u32 v11, v10, s30
	v_add_u32_e32 v12, 1, v10
	v_sub_u32_e32 v9, v9, v11
	v_cmp_le_u32_e32 vcc, s30, v9
	v_subrev_u32_e32 v11, s30, v9
	v_cndmask_b32_e32 v10, v10, v12, vcc
	v_cndmask_b32_e32 v9, v9, v11, vcc
	v_add_u32_e32 v11, 1, v10
	v_cmp_le_u32_e32 vcc, s30, v9
	v_cndmask_b32_e32 v9, v10, v11, vcc
	v_xor_b32_e32 v9, v9, v8
	v_sub_u32_e32 v10, v9, v8
	v_ashrrev_i32_e32 v12, 31, v10
	v_mul_lo_u32 v13, s13, v10
	v_mad_u64_u32 v[8:9], s[0:1], s12, v10, 0
	v_mad_u64_u32 v[10:11], s[0:1], s35, v10, v[1:2]
	v_mul_lo_u32 v12, s12, v12
	v_add_u32_e32 v1, s33, v1
	v_ashrrev_i32_e32 v11, 31, v10
	v_lshlrev_b64 v[10:11], 1, v[10:11]
	v_add3_u32 v9, v9, v12, v13
	v_add_co_u32_e32 v12, vcc, s26, v10
	v_addc_co_u32_e32 v13, vcc, v2, v11, vcc
	v_lshlrev_b64 v[8:9], 1, v[8:9]
	v_add_co_u32_e32 v14, vcc, s21, v10
	v_addc_co_u32_e32 v15, vcc, v3, v11, vcc
	v_add_co_u32_e32 v8, vcc, s29, v8
	v_addc_co_u32_e32 v9, vcc, v4, v9, vcc
	global_load_ushort v16, v[12:13], off
	global_load_ushort v17, v[14:15], off
	v_add_co_u32_e32 v8, vcc, v8, v10
	v_addc_co_u32_e32 v9, vcc, v9, v11, vcc
	v_add_co_u32_e32 v10, vcc, s18, v8
	v_addc_co_u32_e32 v11, vcc, v9, v7, vcc
	global_load_ushort v12, v[10:11], off
	global_load_ushort v13, v[8:9], off
	v_cmp_le_i32_e32 vcc, s14, v1
	s_or_b64 s[8:9], vcc, s[8:9]
	s_waitcnt vmcnt(3)
	v_cvt_f32_f16_e32 v15, v16
	s_waitcnt vmcnt(2)
	v_cvt_f32_f16_e32 v14, v17
	v_cndmask_b32_e64 v14, v14, -v14, s[2:3]
	s_waitcnt vmcnt(1)
	v_lshlrev_b32_e32 v12, 16, v12
	s_waitcnt vmcnt(0)
	v_lshlrev_b32_e32 v13, 16, v13
	v_mul_f32_e32 v15, v15, v12
	v_mul_f32_e32 v12, v14, v12
	v_fma_mix_f32 v12, v13, v16, -v12 op_sel_hi:[0,1,0]
	v_fmac_f32_e32 v15, v14, v13
	v_bfe_u32 v14, v12, 16, 1
	v_bfe_u32 v13, v15, 16, 1
	v_cmp_o_f32_e64 s[0:1], v15, v15
	v_cmp_o_f32_e32 vcc, v12, v12
	v_add3_u32 v12, v12, v14, s31
	v_add3_u32 v13, v15, v13, s31
	v_cndmask_b32_sdwa v12, v6, v12, vcc dst_sel:DWORD dst_unused:UNUSED_PAD src0_sel:DWORD src1_sel:WORD_1
	s_mov_b64 vcc, s[0:1]
	global_store_short v[8:9], v12, off
	v_cndmask_b32_sdwa v8, v6, v13, vcc dst_sel:DWORD dst_unused:UNUSED_PAD src0_sel:DWORD src1_sel:WORD_1
	global_store_short v[10:11], v8, off
	s_andn2_b64 exec, exec, s[8:9]
	s_cbranch_execnz .LBB14_2
.LBB14_3:
	s_or_b64 exec, exec, s[24:25]
	s_cmp_lg_u64 s[16:17], 0
	s_cbranch_scc0 .LBB14_7
; %bb.4:
	s_mul_i32 s8, s15, s20
	v_cmp_gt_i32_e32 vcc, s8, v0
	s_and_saveexec_b64 s[0:1], vcc
	s_cbranch_execz .LBB14_7
; %bb.5:
	s_mul_i32 s0, s10, s7
	s_mul_hi_u32 s1, s10, s6
	s_add_i32 s0, s1, s0
	s_mul_i32 s1, s11, s6
	s_add_i32 s1, s0, s1
	s_mul_i32 s0, s10, s6
	s_lshl_b64 s[0:1], s[0:1], 1
	s_add_u32 s6, s16, s0
	s_addc_u32 s7, s17, s1
	s_lshl_b64 s[0:1], s[22:23], 1
	s_add_u32 s6, s6, s0
	s_addc_u32 s0, s7, s1
	s_abs_i32 s7, s20
	v_cvt_f32_u32_e32 v1, s7
	s_sub_i32 s9, 0, s7
	s_load_dword s1, s[4:5], 0x6c
	s_mov_b64 s[4:5], 0
	v_rcp_iflag_f32_e32 v1, v1
	v_mov_b32_e32 v2, s28
	v_mov_b32_e32 v3, s19
	s_ashr_i32 s10, s20, 31
	v_mul_f32_e32 v1, 0x4f7ffffe, v1
	v_cvt_u32_f32_e32 v5, v1
	v_mov_b32_e32 v1, s27
	s_sub_i32 s11, 0, s20
	s_movk_i32 s14, 0x7fff
	v_mul_lo_u32 v4, s9, v5
	s_waitcnt lgkmcnt(0)
	s_and_b32 s9, s1, 0xffff
	v_mul_hi_u32 v6, v5, v4
	v_mov_b32_e32 v4, s0
	v_add_u32_e32 v5, v5, v6
	v_mov_b32_e32 v6, 0x7fc0
.LBB14_6:                               ; =>This Inner Loop Header: Depth=1
	v_sub_u32_e32 v8, 0, v0
	v_max_i32_e32 v8, v0, v8
	v_mul_hi_u32 v9, v8, v5
	v_ashrrev_i32_e32 v7, 31, v0
	v_xor_b32_e32 v7, s10, v7
	v_mul_lo_u32 v10, v9, s7
	v_add_u32_e32 v11, 1, v9
	v_sub_u32_e32 v8, v8, v10
	v_cmp_le_u32_e32 vcc, s7, v8
	v_subrev_u32_e32 v10, s7, v8
	v_cndmask_b32_e32 v9, v9, v11, vcc
	v_cndmask_b32_e32 v8, v8, v10, vcc
	v_add_u32_e32 v10, 1, v9
	v_cmp_le_u32_e32 vcc, s7, v8
	v_cndmask_b32_e32 v8, v9, v10, vcc
	v_xor_b32_e32 v8, v8, v7
	v_sub_u32_e32 v9, v8, v7
	v_ashrrev_i32_e32 v11, 31, v9
	v_mul_lo_u32 v12, s13, v9
	v_mad_u64_u32 v[7:8], s[0:1], s12, v9, 0
	v_mad_u64_u32 v[9:10], s[0:1], s11, v9, v[0:1]
	v_mul_lo_u32 v11, s12, v11
	v_add_u32_e32 v0, s9, v0
	v_ashrrev_i32_e32 v10, 31, v9
	v_lshlrev_b64 v[9:10], 1, v[9:10]
	v_add3_u32 v8, v8, v11, v12
	v_add_co_u32_e32 v11, vcc, s26, v9
	v_addc_co_u32_e32 v12, vcc, v1, v10, vcc
	v_lshlrev_b64 v[7:8], 1, v[7:8]
	v_add_co_u32_e32 v13, vcc, s21, v9
	v_addc_co_u32_e32 v14, vcc, v2, v10, vcc
	v_add_co_u32_e32 v7, vcc, s6, v7
	v_addc_co_u32_e32 v8, vcc, v4, v8, vcc
	global_load_ushort v15, v[11:12], off
	global_load_ushort v16, v[13:14], off
	v_add_co_u32_e32 v7, vcc, v7, v9
	v_addc_co_u32_e32 v8, vcc, v8, v10, vcc
	v_add_co_u32_e32 v9, vcc, s18, v7
	v_addc_co_u32_e32 v10, vcc, v8, v3, vcc
	global_load_ushort v11, v[9:10], off
	global_load_ushort v12, v[7:8], off
	v_cmp_le_i32_e32 vcc, s8, v0
	s_or_b64 s[4:5], vcc, s[4:5]
	s_waitcnt vmcnt(3)
	v_cvt_f32_f16_e32 v14, v15
	s_waitcnt vmcnt(2)
	v_cvt_f32_f16_e32 v13, v16
	v_cndmask_b32_e64 v13, v13, -v13, s[2:3]
	s_waitcnt vmcnt(1)
	v_lshlrev_b32_e32 v11, 16, v11
	s_waitcnt vmcnt(0)
	v_lshlrev_b32_e32 v12, 16, v12
	v_mul_f32_e32 v14, v14, v11
	v_mul_f32_e32 v11, v13, v11
	v_fma_mix_f32 v11, v12, v15, -v11 op_sel_hi:[0,1,0]
	v_fmac_f32_e32 v14, v13, v12
	v_bfe_u32 v13, v11, 16, 1
	v_bfe_u32 v12, v14, 16, 1
	v_cmp_o_f32_e64 s[0:1], v14, v14
	v_cmp_o_f32_e32 vcc, v11, v11
	v_add3_u32 v11, v11, v13, s14
	v_add3_u32 v12, v14, v12, s14
	v_cndmask_b32_sdwa v11, v6, v11, vcc dst_sel:DWORD dst_unused:UNUSED_PAD src0_sel:DWORD src1_sel:WORD_1
	s_mov_b64 vcc, s[0:1]
	global_store_short v[7:8], v11, off
	v_cndmask_b32_sdwa v7, v6, v12, vcc dst_sel:DWORD dst_unused:UNUSED_PAD src0_sel:DWORD src1_sel:WORD_1
	global_store_short v[9:10], v7, off
	s_andn2_b64 exec, exec, s[4:5]
	s_cbranch_execnz .LBB14_6
.LBB14_7:
	s_endpgm
	.section	.rodata,"a",@progbits
	.p2align	6, 0x0
	.amdhsa_kernel _ZN4vllm23rotary_embedding_kernelIN3c108BFloat16ENS1_4HalfELb1EEEvPKlPT_S7_PKT0_illliiilb
		.amdhsa_group_segment_fixed_size 0
		.amdhsa_private_segment_fixed_size 0
		.amdhsa_kernarg_size 352
		.amdhsa_user_sgpr_count 6
		.amdhsa_user_sgpr_private_segment_buffer 1
		.amdhsa_user_sgpr_dispatch_ptr 0
		.amdhsa_user_sgpr_queue_ptr 0
		.amdhsa_user_sgpr_kernarg_segment_ptr 1
		.amdhsa_user_sgpr_dispatch_id 0
		.amdhsa_user_sgpr_flat_scratch_init 0
		.amdhsa_user_sgpr_private_segment_size 0
		.amdhsa_uses_dynamic_stack 0
		.amdhsa_system_sgpr_private_segment_wavefront_offset 0
		.amdhsa_system_sgpr_workgroup_id_x 1
		.amdhsa_system_sgpr_workgroup_id_y 0
		.amdhsa_system_sgpr_workgroup_id_z 0
		.amdhsa_system_sgpr_workgroup_info 0
		.amdhsa_system_vgpr_workitem_id 0
		.amdhsa_next_free_vgpr 18
		.amdhsa_next_free_sgpr 36
		.amdhsa_reserve_vcc 1
		.amdhsa_reserve_flat_scratch 0
		.amdhsa_float_round_mode_32 0
		.amdhsa_float_round_mode_16_64 0
		.amdhsa_float_denorm_mode_32 3
		.amdhsa_float_denorm_mode_16_64 3
		.amdhsa_dx10_clamp 1
		.amdhsa_ieee_mode 1
		.amdhsa_fp16_overflow 0
		.amdhsa_exception_fp_ieee_invalid_op 0
		.amdhsa_exception_fp_denorm_src 0
		.amdhsa_exception_fp_ieee_div_zero 0
		.amdhsa_exception_fp_ieee_overflow 0
		.amdhsa_exception_fp_ieee_underflow 0
		.amdhsa_exception_fp_ieee_inexact 0
		.amdhsa_exception_int_div_zero 0
	.end_amdhsa_kernel
	.section	.text._ZN4vllm23rotary_embedding_kernelIN3c108BFloat16ENS1_4HalfELb1EEEvPKlPT_S7_PKT0_illliiilb,"axG",@progbits,_ZN4vllm23rotary_embedding_kernelIN3c108BFloat16ENS1_4HalfELb1EEEvPKlPT_S7_PKT0_illliiilb,comdat
.Lfunc_end14:
	.size	_ZN4vllm23rotary_embedding_kernelIN3c108BFloat16ENS1_4HalfELb1EEEvPKlPT_S7_PKT0_illliiilb, .Lfunc_end14-_ZN4vllm23rotary_embedding_kernelIN3c108BFloat16ENS1_4HalfELb1EEEvPKlPT_S7_PKT0_illliiilb
                                        ; -- End function
	.set _ZN4vllm23rotary_embedding_kernelIN3c108BFloat16ENS1_4HalfELb1EEEvPKlPT_S7_PKT0_illliiilb.num_vgpr, 18
	.set _ZN4vllm23rotary_embedding_kernelIN3c108BFloat16ENS1_4HalfELb1EEEvPKlPT_S7_PKT0_illliiilb.num_agpr, 0
	.set _ZN4vllm23rotary_embedding_kernelIN3c108BFloat16ENS1_4HalfELb1EEEvPKlPT_S7_PKT0_illliiilb.numbered_sgpr, 36
	.set _ZN4vllm23rotary_embedding_kernelIN3c108BFloat16ENS1_4HalfELb1EEEvPKlPT_S7_PKT0_illliiilb.num_named_barrier, 0
	.set _ZN4vllm23rotary_embedding_kernelIN3c108BFloat16ENS1_4HalfELb1EEEvPKlPT_S7_PKT0_illliiilb.private_seg_size, 0
	.set _ZN4vllm23rotary_embedding_kernelIN3c108BFloat16ENS1_4HalfELb1EEEvPKlPT_S7_PKT0_illliiilb.uses_vcc, 1
	.set _ZN4vllm23rotary_embedding_kernelIN3c108BFloat16ENS1_4HalfELb1EEEvPKlPT_S7_PKT0_illliiilb.uses_flat_scratch, 0
	.set _ZN4vllm23rotary_embedding_kernelIN3c108BFloat16ENS1_4HalfELb1EEEvPKlPT_S7_PKT0_illliiilb.has_dyn_sized_stack, 0
	.set _ZN4vllm23rotary_embedding_kernelIN3c108BFloat16ENS1_4HalfELb1EEEvPKlPT_S7_PKT0_illliiilb.has_recursion, 0
	.set _ZN4vllm23rotary_embedding_kernelIN3c108BFloat16ENS1_4HalfELb1EEEvPKlPT_S7_PKT0_illliiilb.has_indirect_call, 0
	.section	.AMDGPU.csdata,"",@progbits
; Kernel info:
; codeLenInByte = 1272
; TotalNumSgprs: 40
; NumVgprs: 18
; ScratchSize: 0
; MemoryBound: 0
; FloatMode: 240
; IeeeMode: 1
; LDSByteSize: 0 bytes/workgroup (compile time only)
; SGPRBlocks: 4
; VGPRBlocks: 4
; NumSGPRsForWavesPerEU: 40
; NumVGPRsForWavesPerEU: 18
; Occupancy: 10
; WaveLimiterHint : 1
; COMPUTE_PGM_RSRC2:SCRATCH_EN: 0
; COMPUTE_PGM_RSRC2:USER_SGPR: 6
; COMPUTE_PGM_RSRC2:TRAP_HANDLER: 0
; COMPUTE_PGM_RSRC2:TGID_X_EN: 1
; COMPUTE_PGM_RSRC2:TGID_Y_EN: 0
; COMPUTE_PGM_RSRC2:TGID_Z_EN: 0
; COMPUTE_PGM_RSRC2:TIDIG_COMP_CNT: 0
	.section	.text._ZN4vllm23rotary_embedding_kernelIN3c108BFloat16ENS1_4HalfELb0EEEvPKlPT_S7_PKT0_illliiilb,"axG",@progbits,_ZN4vllm23rotary_embedding_kernelIN3c108BFloat16ENS1_4HalfELb0EEEvPKlPT_S7_PKT0_illliiilb,comdat
	.protected	_ZN4vllm23rotary_embedding_kernelIN3c108BFloat16ENS1_4HalfELb0EEEvPKlPT_S7_PKT0_illliiilb ; -- Begin function _ZN4vllm23rotary_embedding_kernelIN3c108BFloat16ENS1_4HalfELb0EEEvPKlPT_S7_PKT0_illliiilb
	.globl	_ZN4vllm23rotary_embedding_kernelIN3c108BFloat16ENS1_4HalfELb0EEEvPKlPT_S7_PKT0_illliiilb
	.p2align	8
	.type	_ZN4vllm23rotary_embedding_kernelIN3c108BFloat16ENS1_4HalfELb0EEEvPKlPT_S7_PKT0_illliiilb,@function
_ZN4vllm23rotary_embedding_kernelIN3c108BFloat16ENS1_4HalfELb0EEEvPKlPT_S7_PKT0_illliiilb: ; @_ZN4vllm23rotary_embedding_kernelIN3c108BFloat16ENS1_4HalfELb0EEEvPKlPT_S7_PKT0_illliiilb
; %bb.0:
	s_load_dword s25, s[4:5], 0x20
	s_load_dword s2, s[4:5], 0x58
	s_load_dwordx2 s[0:1], s[4:5], 0x0
	s_load_dwordx4 s[16:19], s[4:5], 0x10
	s_waitcnt lgkmcnt(0)
	s_ashr_i32 s24, s25, 31
	s_bitcmp1_b32 s2, 0
	s_cselect_b64 s[2:3], -1, 0
	s_ashr_i32 s7, s6, 31
	s_lshl_b64 s[8:9], s[6:7], 3
	s_add_u32 s0, s0, s8
	s_addc_u32 s1, s1, s9
	s_load_dwordx2 s[22:23], s[0:1], 0x0
	s_load_dwordx2 s[20:21], s[4:5], 0x50
	s_load_dwordx8 s[8:15], s[4:5], 0x28
	s_waitcnt lgkmcnt(0)
	s_mul_i32 s0, s22, s24
	s_mul_hi_u32 s1, s22, s25
	s_add_i32 s0, s1, s0
	s_mul_i32 s1, s23, s25
	s_add_i32 s1, s0, s1
	s_mul_i32 s0, s22, s25
	s_lshl_b64 s[0:1], s[0:1], 1
	s_add_u32 s24, s18, s0
	s_addc_u32 s26, s19, s1
	s_lshr_b32 s0, s25, 31
	s_add_i32 s25, s25, s0
	s_ashr_i32 s18, s25, 1
	s_ashr_i32 s19, s18, 31
	s_lshl_b64 s[0:1], s[18:19], 1
	s_add_u32 s25, s24, s0
	s_mul_i32 s14, s14, s18
	s_addc_u32 s27, s26, s1
	v_cmp_gt_i32_e32 vcc, s14, v0
	s_and_saveexec_b64 s[22:23], vcc
	s_cbranch_execz .LBB15_3
; %bb.1:
	s_load_dwordx2 s[0:1], s[4:5], 0x8
	s_load_dword s30, s[4:5], 0x6c
	s_mul_i32 s28, s8, s7
	s_mul_hi_u32 s29, s8, s6
	s_add_i32 s28, s29, s28
	s_mul_i32 s9, s9, s6
	s_add_i32 s9, s28, s9
	s_mul_i32 s8, s8, s6
	s_lshl_b64 s[8:9], s[8:9], 1
	s_waitcnt lgkmcnt(0)
	s_add_u32 s8, s0, s8
	s_addc_u32 s9, s1, s9
	s_lshl_b64 s[0:1], s[20:21], 1
	s_add_u32 s28, s8, s0
	s_addc_u32 s0, s9, s1
	s_abs_i32 s29, s18
	v_cvt_f32_u32_e32 v1, s29
	s_sub_i32 s1, 0, s29
	s_and_b32 s30, s30, 0xffff
	s_mov_b64 s[8:9], 0
	v_rcp_iflag_f32_e32 v1, v1
	s_sub_i32 s31, 0, s18
	s_lshl_b32 s34, s30, 1
	v_mov_b32_e32 v5, s26
	v_mul_f32_e32 v1, 0x4f7ffffe, v1
	v_cvt_u32_f32_e32 v2, v1
	v_lshlrev_b32_e32 v1, 1, v0
	v_mov_b32_e32 v6, s27
	s_movk_i32 s35, 0x7fff
	v_mul_lo_u32 v3, s1, v2
	s_lshl_b32 s1, s18, 1
	s_sub_i32 s33, 0, s1
	v_mov_b32_e32 v7, 0x7fc0
	v_mul_hi_u32 v4, v2, v3
	v_mov_b32_e32 v3, s0
	s_mov_b32 s36, 0x5040100
	v_mov_b32_e32 v8, 1
	v_add_u32_e32 v4, v2, v4
	v_mov_b32_e32 v2, v0
.LBB15_2:                               ; =>This Inner Loop Header: Depth=1
	v_sub_u32_e32 v10, 0, v2
	v_max_i32_e32 v10, v2, v10
	v_mul_hi_u32 v11, v10, v4
	v_ashrrev_i32_e32 v9, 31, v2
	v_xor_b32_e32 v9, s19, v9
	v_mul_lo_u32 v12, v11, s29
	v_add_u32_e32 v13, 1, v11
	v_sub_u32_e32 v10, v10, v12
	v_cmp_le_u32_e32 vcc, s29, v10
	v_subrev_u32_e32 v12, s29, v10
	v_cndmask_b32_e32 v11, v11, v13, vcc
	v_cndmask_b32_e32 v10, v10, v12, vcc
	v_add_u32_e32 v12, 1, v11
	v_cmp_le_u32_e32 vcc, s29, v10
	v_cndmask_b32_e32 v10, v11, v12, vcc
	v_xor_b32_e32 v10, v10, v9
	v_sub_u32_e32 v13, v10, v9
	v_mad_u64_u32 v[11:12], s[0:1], s31, v13, v[2:3]
	v_ashrrev_i32_e32 v15, 31, v13
	v_mul_lo_u32 v16, s13, v13
	v_mad_u64_u32 v[9:10], s[0:1], s12, v13, 0
	v_mul_lo_u32 v15, s12, v15
	v_ashrrev_i32_e32 v12, 31, v11
	v_lshlrev_b64 v[11:12], 1, v[11:12]
	v_mad_u64_u32 v[13:14], s[0:1], s33, v13, v[1:2]
	v_add3_u32 v10, v10, v15, v16
	v_add_co_u32_e32 v15, vcc, s24, v11
	v_addc_co_u32_e32 v16, vcc, v5, v12, vcc
	v_lshlrev_b64 v[9:10], 1, v[9:10]
	v_add_co_u32_e32 v11, vcc, s25, v11
	v_ashrrev_i32_e32 v14, 31, v13
	v_addc_co_u32_e32 v12, vcc, v6, v12, vcc
	v_lshlrev_b64 v[13:14], 1, v[13:14]
	v_add_co_u32_e32 v9, vcc, s28, v9
	global_load_ushort v17, v[15:16], off
	global_load_ushort v18, v[11:12], off
	v_addc_co_u32_e32 v10, vcc, v3, v10, vcc
	v_add_co_u32_e32 v9, vcc, v9, v13
	v_addc_co_u32_e32 v10, vcc, v10, v14, vcc
	global_load_dword v11, v[9:10], off
	v_add_u32_e32 v2, s30, v2
	v_cmp_le_i32_e32 vcc, s14, v2
	s_or_b64 s[8:9], vcc, s[8:9]
	v_add_u32_e32 v1, s34, v1
	s_waitcnt vmcnt(2)
	v_cvt_f32_f16_e32 v13, v17
	s_waitcnt vmcnt(1)
	v_cvt_f32_f16_e32 v12, v18
	v_cndmask_b32_e64 v12, v12, -v12, s[2:3]
	s_waitcnt vmcnt(0)
	v_lshlrev_b32_e32 v14, 16, v11
	v_and_b32_e32 v11, 0xffff0000, v11
	v_mul_f32_e32 v13, v13, v11
	v_mul_f32_e32 v11, v12, v11
	v_fma_mix_f32 v11, v17, v14, -v11 op_sel_hi:[1,0,0]
	v_fmac_f32_e32 v13, v12, v14
	v_and_b32_sdwa v14, v11, v8 dst_sel:DWORD dst_unused:UNUSED_PAD src0_sel:WORD_1 src1_sel:DWORD
	v_and_b32_sdwa v12, v13, v8 dst_sel:DWORD dst_unused:UNUSED_PAD src0_sel:WORD_1 src1_sel:DWORD
	v_cmp_o_f32_e64 s[0:1], v13, v13
	v_cmp_o_f32_e32 vcc, v11, v11
	v_add3_u32 v11, v11, v14, s35
	v_add3_u32 v12, v13, v12, s35
	v_cndmask_b32_sdwa v11, v7, v11, vcc dst_sel:DWORD dst_unused:UNUSED_PAD src0_sel:DWORD src1_sel:WORD_1
	s_mov_b64 vcc, s[0:1]
	v_cndmask_b32_sdwa v12, v7, v12, vcc dst_sel:DWORD dst_unused:UNUSED_PAD src0_sel:DWORD src1_sel:WORD_1
	v_perm_b32 v11, v12, v11, s36
	global_store_dword v[9:10], v11, off
	s_andn2_b64 exec, exec, s[8:9]
	s_cbranch_execnz .LBB15_2
.LBB15_3:
	s_or_b64 exec, exec, s[22:23]
	s_cmp_lg_u64 s[16:17], 0
	s_cbranch_scc0 .LBB15_7
; %bb.4:
	s_mul_i32 s8, s15, s18
	v_cmp_gt_i32_e32 vcc, s8, v0
	s_and_saveexec_b64 s[0:1], vcc
	s_cbranch_execz .LBB15_7
; %bb.5:
	s_mul_i32 s0, s10, s7
	s_mul_hi_u32 s1, s10, s6
	s_add_i32 s0, s1, s0
	s_mul_i32 s1, s11, s6
	s_add_i32 s1, s0, s1
	s_mul_i32 s0, s10, s6
	s_lshl_b64 s[0:1], s[0:1], 1
	s_add_u32 s6, s16, s0
	s_addc_u32 s7, s17, s1
	s_lshl_b64 s[0:1], s[20:21], 1
	s_add_u32 s6, s6, s0
	s_addc_u32 s0, s7, s1
	s_abs_i32 s7, s18
	v_cvt_f32_u32_e32 v1, s7
	s_sub_i32 s9, 0, s7
	s_load_dword s1, s[4:5], 0x6c
	s_mov_b64 s[4:5], 0
	v_rcp_iflag_f32_e32 v1, v1
	s_sub_i32 s10, 0, s18
	v_mov_b32_e32 v5, s27
	s_movk_i32 s15, 0x7fff
	v_mul_f32_e32 v1, 0x4f7ffffe, v1
	v_cvt_u32_f32_e32 v3, v1
	v_lshlrev_b32_e32 v1, 1, v0
	v_mov_b32_e32 v6, 0x7fc0
	s_mov_b32 s16, 0x5040100
	v_mul_lo_u32 v2, s9, v3
	s_waitcnt lgkmcnt(0)
	s_and_b32 s9, s1, 0xffff
	s_lshl_b32 s1, s18, 1
	s_sub_i32 s11, 0, s1
	v_mul_hi_u32 v4, v3, v2
	s_lshl_b32 s14, s9, 1
	v_mov_b32_e32 v2, s0
	v_mov_b32_e32 v7, 1
	v_add_u32_e32 v3, v3, v4
	v_mov_b32_e32 v4, s26
.LBB15_6:                               ; =>This Inner Loop Header: Depth=1
	v_sub_u32_e32 v9, 0, v0
	v_max_i32_e32 v9, v0, v9
	v_mul_hi_u32 v10, v9, v3
	v_ashrrev_i32_e32 v8, 31, v0
	v_xor_b32_e32 v8, s19, v8
	v_mul_lo_u32 v11, v10, s7
	v_add_u32_e32 v12, 1, v10
	v_sub_u32_e32 v9, v9, v11
	v_cmp_le_u32_e32 vcc, s7, v9
	v_subrev_u32_e32 v11, s7, v9
	v_cndmask_b32_e32 v10, v10, v12, vcc
	v_cndmask_b32_e32 v9, v9, v11, vcc
	v_add_u32_e32 v11, 1, v10
	v_cmp_le_u32_e32 vcc, s7, v9
	v_cndmask_b32_e32 v9, v10, v11, vcc
	v_xor_b32_e32 v9, v9, v8
	v_sub_u32_e32 v12, v9, v8
	v_mad_u64_u32 v[10:11], s[0:1], s10, v12, v[0:1]
	v_ashrrev_i32_e32 v14, 31, v12
	v_mul_lo_u32 v15, s13, v12
	v_mad_u64_u32 v[8:9], s[0:1], s12, v12, 0
	v_mul_lo_u32 v14, s12, v14
	v_ashrrev_i32_e32 v11, 31, v10
	v_lshlrev_b64 v[10:11], 1, v[10:11]
	v_mad_u64_u32 v[12:13], s[0:1], s11, v12, v[1:2]
	v_add3_u32 v9, v9, v14, v15
	v_add_co_u32_e32 v14, vcc, s24, v10
	v_addc_co_u32_e32 v15, vcc, v4, v11, vcc
	v_lshlrev_b64 v[8:9], 1, v[8:9]
	v_add_co_u32_e32 v10, vcc, s25, v10
	v_ashrrev_i32_e32 v13, 31, v12
	v_addc_co_u32_e32 v11, vcc, v5, v11, vcc
	v_lshlrev_b64 v[12:13], 1, v[12:13]
	v_add_co_u32_e32 v8, vcc, s6, v8
	global_load_ushort v16, v[14:15], off
	global_load_ushort v17, v[10:11], off
	v_addc_co_u32_e32 v9, vcc, v2, v9, vcc
	v_add_co_u32_e32 v8, vcc, v8, v12
	v_addc_co_u32_e32 v9, vcc, v9, v13, vcc
	global_load_dword v10, v[8:9], off
	v_add_u32_e32 v0, s9, v0
	v_cmp_le_i32_e32 vcc, s8, v0
	s_or_b64 s[4:5], vcc, s[4:5]
	v_add_u32_e32 v1, s14, v1
	s_waitcnt vmcnt(2)
	v_cvt_f32_f16_e32 v12, v16
	s_waitcnt vmcnt(1)
	v_cvt_f32_f16_e32 v11, v17
	v_cndmask_b32_e64 v11, v11, -v11, s[2:3]
	s_waitcnt vmcnt(0)
	v_lshlrev_b32_e32 v13, 16, v10
	v_and_b32_e32 v10, 0xffff0000, v10
	v_mul_f32_e32 v12, v12, v10
	v_mul_f32_e32 v10, v11, v10
	v_fma_mix_f32 v10, v16, v13, -v10 op_sel_hi:[1,0,0]
	v_fmac_f32_e32 v12, v11, v13
	v_and_b32_sdwa v13, v10, v7 dst_sel:DWORD dst_unused:UNUSED_PAD src0_sel:WORD_1 src1_sel:DWORD
	v_and_b32_sdwa v11, v12, v7 dst_sel:DWORD dst_unused:UNUSED_PAD src0_sel:WORD_1 src1_sel:DWORD
	v_cmp_o_f32_e64 s[0:1], v12, v12
	v_cmp_o_f32_e32 vcc, v10, v10
	v_add3_u32 v10, v10, v13, s15
	v_add3_u32 v11, v12, v11, s15
	v_cndmask_b32_sdwa v10, v6, v10, vcc dst_sel:DWORD dst_unused:UNUSED_PAD src0_sel:DWORD src1_sel:WORD_1
	s_mov_b64 vcc, s[0:1]
	v_cndmask_b32_sdwa v11, v6, v11, vcc dst_sel:DWORD dst_unused:UNUSED_PAD src0_sel:DWORD src1_sel:WORD_1
	v_perm_b32 v10, v11, v10, s16
	global_store_dword v[8:9], v10, off
	s_andn2_b64 exec, exec, s[4:5]
	s_cbranch_execnz .LBB15_6
.LBB15_7:
	s_endpgm
	.section	.rodata,"a",@progbits
	.p2align	6, 0x0
	.amdhsa_kernel _ZN4vllm23rotary_embedding_kernelIN3c108BFloat16ENS1_4HalfELb0EEEvPKlPT_S7_PKT0_illliiilb
		.amdhsa_group_segment_fixed_size 0
		.amdhsa_private_segment_fixed_size 0
		.amdhsa_kernarg_size 352
		.amdhsa_user_sgpr_count 6
		.amdhsa_user_sgpr_private_segment_buffer 1
		.amdhsa_user_sgpr_dispatch_ptr 0
		.amdhsa_user_sgpr_queue_ptr 0
		.amdhsa_user_sgpr_kernarg_segment_ptr 1
		.amdhsa_user_sgpr_dispatch_id 0
		.amdhsa_user_sgpr_flat_scratch_init 0
		.amdhsa_user_sgpr_private_segment_size 0
		.amdhsa_uses_dynamic_stack 0
		.amdhsa_system_sgpr_private_segment_wavefront_offset 0
		.amdhsa_system_sgpr_workgroup_id_x 1
		.amdhsa_system_sgpr_workgroup_id_y 0
		.amdhsa_system_sgpr_workgroup_id_z 0
		.amdhsa_system_sgpr_workgroup_info 0
		.amdhsa_system_vgpr_workitem_id 0
		.amdhsa_next_free_vgpr 19
		.amdhsa_next_free_sgpr 37
		.amdhsa_reserve_vcc 1
		.amdhsa_reserve_flat_scratch 0
		.amdhsa_float_round_mode_32 0
		.amdhsa_float_round_mode_16_64 0
		.amdhsa_float_denorm_mode_32 3
		.amdhsa_float_denorm_mode_16_64 3
		.amdhsa_dx10_clamp 1
		.amdhsa_ieee_mode 1
		.amdhsa_fp16_overflow 0
		.amdhsa_exception_fp_ieee_invalid_op 0
		.amdhsa_exception_fp_denorm_src 0
		.amdhsa_exception_fp_ieee_div_zero 0
		.amdhsa_exception_fp_ieee_overflow 0
		.amdhsa_exception_fp_ieee_underflow 0
		.amdhsa_exception_fp_ieee_inexact 0
		.amdhsa_exception_int_div_zero 0
	.end_amdhsa_kernel
	.section	.text._ZN4vllm23rotary_embedding_kernelIN3c108BFloat16ENS1_4HalfELb0EEEvPKlPT_S7_PKT0_illliiilb,"axG",@progbits,_ZN4vllm23rotary_embedding_kernelIN3c108BFloat16ENS1_4HalfELb0EEEvPKlPT_S7_PKT0_illliiilb,comdat
.Lfunc_end15:
	.size	_ZN4vllm23rotary_embedding_kernelIN3c108BFloat16ENS1_4HalfELb0EEEvPKlPT_S7_PKT0_illliiilb, .Lfunc_end15-_ZN4vllm23rotary_embedding_kernelIN3c108BFloat16ENS1_4HalfELb0EEEvPKlPT_S7_PKT0_illliiilb
                                        ; -- End function
	.set _ZN4vllm23rotary_embedding_kernelIN3c108BFloat16ENS1_4HalfELb0EEEvPKlPT_S7_PKT0_illliiilb.num_vgpr, 19
	.set _ZN4vllm23rotary_embedding_kernelIN3c108BFloat16ENS1_4HalfELb0EEEvPKlPT_S7_PKT0_illliiilb.num_agpr, 0
	.set _ZN4vllm23rotary_embedding_kernelIN3c108BFloat16ENS1_4HalfELb0EEEvPKlPT_S7_PKT0_illliiilb.numbered_sgpr, 37
	.set _ZN4vllm23rotary_embedding_kernelIN3c108BFloat16ENS1_4HalfELb0EEEvPKlPT_S7_PKT0_illliiilb.num_named_barrier, 0
	.set _ZN4vllm23rotary_embedding_kernelIN3c108BFloat16ENS1_4HalfELb0EEEvPKlPT_S7_PKT0_illliiilb.private_seg_size, 0
	.set _ZN4vllm23rotary_embedding_kernelIN3c108BFloat16ENS1_4HalfELb0EEEvPKlPT_S7_PKT0_illliiilb.uses_vcc, 1
	.set _ZN4vllm23rotary_embedding_kernelIN3c108BFloat16ENS1_4HalfELb0EEEvPKlPT_S7_PKT0_illliiilb.uses_flat_scratch, 0
	.set _ZN4vllm23rotary_embedding_kernelIN3c108BFloat16ENS1_4HalfELb0EEEvPKlPT_S7_PKT0_illliiilb.has_dyn_sized_stack, 0
	.set _ZN4vllm23rotary_embedding_kernelIN3c108BFloat16ENS1_4HalfELb0EEEvPKlPT_S7_PKT0_illliiilb.has_recursion, 0
	.set _ZN4vllm23rotary_embedding_kernelIN3c108BFloat16ENS1_4HalfELb0EEEvPKlPT_S7_PKT0_illliiilb.has_indirect_call, 0
	.section	.AMDGPU.csdata,"",@progbits
; Kernel info:
; codeLenInByte = 1328
; TotalNumSgprs: 41
; NumVgprs: 19
; ScratchSize: 0
; MemoryBound: 0
; FloatMode: 240
; IeeeMode: 1
; LDSByteSize: 0 bytes/workgroup (compile time only)
; SGPRBlocks: 5
; VGPRBlocks: 4
; NumSGPRsForWavesPerEU: 41
; NumVGPRsForWavesPerEU: 19
; Occupancy: 10
; WaveLimiterHint : 1
; COMPUTE_PGM_RSRC2:SCRATCH_EN: 0
; COMPUTE_PGM_RSRC2:USER_SGPR: 6
; COMPUTE_PGM_RSRC2:TRAP_HANDLER: 0
; COMPUTE_PGM_RSRC2:TGID_X_EN: 1
; COMPUTE_PGM_RSRC2:TGID_Y_EN: 0
; COMPUTE_PGM_RSRC2:TGID_Z_EN: 0
; COMPUTE_PGM_RSRC2:TIDIG_COMP_CNT: 0
	.section	.text._ZN4vllm23rotary_embedding_kernelIN3c108BFloat16ES2_Lb1EEEvPKlPT_S6_PKT0_illliiilb,"axG",@progbits,_ZN4vllm23rotary_embedding_kernelIN3c108BFloat16ES2_Lb1EEEvPKlPT_S6_PKT0_illliiilb,comdat
	.protected	_ZN4vllm23rotary_embedding_kernelIN3c108BFloat16ES2_Lb1EEEvPKlPT_S6_PKT0_illliiilb ; -- Begin function _ZN4vllm23rotary_embedding_kernelIN3c108BFloat16ES2_Lb1EEEvPKlPT_S6_PKT0_illliiilb
	.globl	_ZN4vllm23rotary_embedding_kernelIN3c108BFloat16ES2_Lb1EEEvPKlPT_S6_PKT0_illliiilb
	.p2align	8
	.type	_ZN4vllm23rotary_embedding_kernelIN3c108BFloat16ES2_Lb1EEEvPKlPT_S6_PKT0_illliiilb,@function
_ZN4vllm23rotary_embedding_kernelIN3c108BFloat16ES2_Lb1EEEvPKlPT_S6_PKT0_illliiilb: ; @_ZN4vllm23rotary_embedding_kernelIN3c108BFloat16ES2_Lb1EEEvPKlPT_S6_PKT0_illliiilb
; %bb.0:
	s_load_dword s24, s[4:5], 0x20
	s_load_dword s2, s[4:5], 0x58
	s_load_dwordx2 s[0:1], s[4:5], 0x0
	s_load_dwordx4 s[16:19], s[4:5], 0x10
	s_waitcnt lgkmcnt(0)
	s_ashr_i32 s25, s24, 31
	s_bitcmp1_b32 s2, 0
	s_cselect_b64 s[2:3], -1, 0
	s_ashr_i32 s7, s6, 31
	s_lshl_b64 s[8:9], s[6:7], 3
	s_add_u32 s0, s0, s8
	s_addc_u32 s1, s1, s9
	s_load_dwordx2 s[20:21], s[0:1], 0x0
	s_load_dwordx2 s[22:23], s[4:5], 0x50
	s_load_dwordx8 s[8:15], s[4:5], 0x28
	s_waitcnt lgkmcnt(0)
	s_mul_i32 s0, s20, s25
	s_mul_hi_u32 s1, s20, s24
	s_add_i32 s0, s1, s0
	s_mul_i32 s1, s21, s24
	s_add_i32 s1, s0, s1
	s_mul_i32 s0, s20, s24
	s_lshl_b64 s[0:1], s[0:1], 1
	s_add_u32 s26, s18, s0
	s_addc_u32 s27, s19, s1
	s_lshr_b32 s0, s24, 31
	s_add_i32 s24, s24, s0
	s_ashr_i32 s20, s24, 1
	s_ashr_i32 s21, s20, 31
	s_lshl_b64 s[18:19], s[20:21], 1
	s_add_u32 s21, s26, s18
	s_mul_i32 s14, s14, s20
	s_addc_u32 s28, s27, s19
	v_cmp_gt_i32_e32 vcc, s14, v0
	s_and_saveexec_b64 s[24:25], vcc
	s_cbranch_execz .LBB16_3
; %bb.1:
	s_load_dwordx2 s[0:1], s[4:5], 0x8
	s_load_dword s33, s[4:5], 0x6c
	s_mul_i32 s29, s8, s7
	s_mul_hi_u32 s30, s8, s6
	s_add_i32 s29, s30, s29
	s_mul_i32 s9, s9, s6
	s_add_i32 s9, s29, s9
	s_mul_i32 s8, s8, s6
	s_lshl_b64 s[8:9], s[8:9], 1
	s_waitcnt lgkmcnt(0)
	s_add_u32 s8, s0, s8
	s_addc_u32 s9, s1, s9
	s_lshl_b64 s[0:1], s[22:23], 1
	s_add_u32 s29, s8, s0
	s_addc_u32 s0, s9, s1
	s_abs_i32 s30, s20
	v_cvt_f32_u32_e32 v1, s30
	s_sub_i32 s1, 0, s30
	s_mov_b64 s[8:9], 0
	v_mov_b32_e32 v2, s27
	v_rcp_iflag_f32_e32 v1, v1
	v_mov_b32_e32 v3, s28
	s_movk_i32 s31, 0x7fff
	s_and_b32 s33, s33, 0xffff
	v_mul_f32_e32 v1, 0x4f7ffffe, v1
	v_cvt_u32_f32_e32 v1, v1
	s_ashr_i32 s34, s20, 31
	s_sub_i32 s35, 0, s20
	v_mov_b32_e32 v6, 0x7fc0
	v_mul_lo_u32 v4, s1, v1
	v_mov_b32_e32 v7, s19
	v_mul_hi_u32 v5, v1, v4
	v_mov_b32_e32 v4, s0
	v_add_u32_e32 v5, v1, v5
	v_mov_b32_e32 v1, v0
.LBB16_2:                               ; =>This Inner Loop Header: Depth=1
	v_sub_u32_e32 v9, 0, v1
	v_max_i32_e32 v9, v1, v9
	v_mul_hi_u32 v10, v9, v5
	v_ashrrev_i32_e32 v8, 31, v1
	v_xor_b32_e32 v8, s34, v8
	v_mul_lo_u32 v11, v10, s30
	v_add_u32_e32 v12, 1, v10
	v_sub_u32_e32 v9, v9, v11
	v_cmp_le_u32_e32 vcc, s30, v9
	v_subrev_u32_e32 v11, s30, v9
	v_cndmask_b32_e32 v10, v10, v12, vcc
	v_cndmask_b32_e32 v9, v9, v11, vcc
	v_add_u32_e32 v11, 1, v10
	v_cmp_le_u32_e32 vcc, s30, v9
	v_cndmask_b32_e32 v9, v10, v11, vcc
	v_xor_b32_e32 v9, v9, v8
	v_sub_u32_e32 v10, v9, v8
	v_ashrrev_i32_e32 v12, 31, v10
	v_mul_lo_u32 v13, s13, v10
	v_mad_u64_u32 v[8:9], s[0:1], s12, v10, 0
	v_mad_u64_u32 v[10:11], s[0:1], s35, v10, v[1:2]
	v_mul_lo_u32 v12, s12, v12
	v_add_u32_e32 v1, s33, v1
	v_ashrrev_i32_e32 v11, 31, v10
	v_lshlrev_b64 v[10:11], 1, v[10:11]
	v_add3_u32 v9, v9, v12, v13
	v_add_co_u32_e32 v12, vcc, s26, v10
	v_addc_co_u32_e32 v13, vcc, v2, v11, vcc
	v_lshlrev_b64 v[8:9], 1, v[8:9]
	v_add_co_u32_e32 v14, vcc, s21, v10
	v_addc_co_u32_e32 v15, vcc, v3, v11, vcc
	v_add_co_u32_e32 v8, vcc, s29, v8
	v_addc_co_u32_e32 v9, vcc, v4, v9, vcc
	;; [unrolled: 2-line block ×3, first 2 shown]
	global_load_ushort v16, v[12:13], off
	global_load_ushort v17, v[14:15], off
	v_add_co_u32_e32 v10, vcc, s18, v8
	v_addc_co_u32_e32 v11, vcc, v9, v7, vcc
	global_load_ushort v12, v[10:11], off
	global_load_ushort v13, v[8:9], off
	v_cmp_le_i32_e32 vcc, s14, v1
	s_or_b64 s[8:9], vcc, s[8:9]
	s_waitcnt vmcnt(3)
	v_lshlrev_b32_e32 v14, 16, v16
	s_waitcnt vmcnt(2)
	v_lshlrev_b32_e32 v15, 16, v17
	v_cndmask_b32_e64 v15, v15, -v15, s[2:3]
	s_waitcnt vmcnt(1)
	v_lshlrev_b32_e32 v12, 16, v12
	s_waitcnt vmcnt(0)
	v_lshlrev_b32_e32 v13, 16, v13
	v_mul_f32_e32 v16, v15, v12
	v_mul_f32_e32 v12, v14, v12
	v_fma_f32 v14, v13, v14, -v16
	v_fmac_f32_e32 v12, v15, v13
	v_bfe_u32 v13, v14, 16, 1
	v_cmp_o_f32_e32 vcc, v14, v14
	v_bfe_u32 v15, v12, 16, 1
	v_cmp_o_f32_e64 s[0:1], v12, v12
	v_add3_u32 v13, v14, v13, s31
	v_add3_u32 v12, v12, v15, s31
	v_cndmask_b32_sdwa v13, v6, v13, vcc dst_sel:DWORD dst_unused:UNUSED_PAD src0_sel:DWORD src1_sel:WORD_1
	s_mov_b64 vcc, s[0:1]
	global_store_short v[8:9], v13, off
	v_cndmask_b32_sdwa v8, v6, v12, vcc dst_sel:DWORD dst_unused:UNUSED_PAD src0_sel:DWORD src1_sel:WORD_1
	global_store_short v[10:11], v8, off
	s_andn2_b64 exec, exec, s[8:9]
	s_cbranch_execnz .LBB16_2
.LBB16_3:
	s_or_b64 exec, exec, s[24:25]
	s_cmp_lg_u64 s[16:17], 0
	s_cbranch_scc0 .LBB16_7
; %bb.4:
	s_mul_i32 s8, s15, s20
	v_cmp_gt_i32_e32 vcc, s8, v0
	s_and_saveexec_b64 s[0:1], vcc
	s_cbranch_execz .LBB16_7
; %bb.5:
	s_mul_i32 s0, s10, s7
	s_mul_hi_u32 s1, s10, s6
	s_add_i32 s0, s1, s0
	s_mul_i32 s1, s11, s6
	s_add_i32 s1, s0, s1
	s_mul_i32 s0, s10, s6
	s_lshl_b64 s[0:1], s[0:1], 1
	s_add_u32 s6, s16, s0
	s_addc_u32 s7, s17, s1
	s_lshl_b64 s[0:1], s[22:23], 1
	s_add_u32 s6, s6, s0
	s_addc_u32 s0, s7, s1
	s_abs_i32 s7, s20
	v_cvt_f32_u32_e32 v1, s7
	s_sub_i32 s9, 0, s7
	s_load_dword s1, s[4:5], 0x6c
	s_mov_b64 s[4:5], 0
	v_rcp_iflag_f32_e32 v1, v1
	v_mov_b32_e32 v2, s28
	v_mov_b32_e32 v3, s19
	s_ashr_i32 s10, s20, 31
	v_mul_f32_e32 v1, 0x4f7ffffe, v1
	v_cvt_u32_f32_e32 v5, v1
	v_mov_b32_e32 v1, s27
	s_sub_i32 s11, 0, s20
	s_movk_i32 s14, 0x7fff
	v_mul_lo_u32 v4, s9, v5
	s_waitcnt lgkmcnt(0)
	s_and_b32 s9, s1, 0xffff
	v_mul_hi_u32 v6, v5, v4
	v_mov_b32_e32 v4, s0
	v_add_u32_e32 v5, v5, v6
	v_mov_b32_e32 v6, 0x7fc0
.LBB16_6:                               ; =>This Inner Loop Header: Depth=1
	v_sub_u32_e32 v8, 0, v0
	v_max_i32_e32 v8, v0, v8
	v_mul_hi_u32 v9, v8, v5
	v_ashrrev_i32_e32 v7, 31, v0
	v_xor_b32_e32 v7, s10, v7
	v_mul_lo_u32 v10, v9, s7
	v_add_u32_e32 v11, 1, v9
	v_sub_u32_e32 v8, v8, v10
	v_cmp_le_u32_e32 vcc, s7, v8
	v_subrev_u32_e32 v10, s7, v8
	v_cndmask_b32_e32 v9, v9, v11, vcc
	v_cndmask_b32_e32 v8, v8, v10, vcc
	v_add_u32_e32 v10, 1, v9
	v_cmp_le_u32_e32 vcc, s7, v8
	v_cndmask_b32_e32 v8, v9, v10, vcc
	v_xor_b32_e32 v8, v8, v7
	v_sub_u32_e32 v9, v8, v7
	v_ashrrev_i32_e32 v11, 31, v9
	v_mul_lo_u32 v12, s13, v9
	v_mad_u64_u32 v[7:8], s[0:1], s12, v9, 0
	v_mad_u64_u32 v[9:10], s[0:1], s11, v9, v[0:1]
	v_mul_lo_u32 v11, s12, v11
	v_add_u32_e32 v0, s9, v0
	v_ashrrev_i32_e32 v10, 31, v9
	v_lshlrev_b64 v[9:10], 1, v[9:10]
	v_add3_u32 v8, v8, v11, v12
	v_add_co_u32_e32 v11, vcc, s26, v9
	v_addc_co_u32_e32 v12, vcc, v1, v10, vcc
	v_lshlrev_b64 v[7:8], 1, v[7:8]
	v_add_co_u32_e32 v13, vcc, s21, v9
	v_addc_co_u32_e32 v14, vcc, v2, v10, vcc
	v_add_co_u32_e32 v7, vcc, s6, v7
	v_addc_co_u32_e32 v8, vcc, v4, v8, vcc
	;; [unrolled: 2-line block ×3, first 2 shown]
	global_load_ushort v15, v[11:12], off
	global_load_ushort v16, v[13:14], off
	v_add_co_u32_e32 v9, vcc, s18, v7
	v_addc_co_u32_e32 v10, vcc, v8, v3, vcc
	global_load_ushort v11, v[9:10], off
	global_load_ushort v12, v[7:8], off
	v_cmp_le_i32_e32 vcc, s8, v0
	s_or_b64 s[4:5], vcc, s[4:5]
	s_waitcnt vmcnt(3)
	v_lshlrev_b32_e32 v13, 16, v15
	s_waitcnt vmcnt(2)
	v_lshlrev_b32_e32 v14, 16, v16
	v_cndmask_b32_e64 v14, v14, -v14, s[2:3]
	s_waitcnt vmcnt(1)
	v_lshlrev_b32_e32 v11, 16, v11
	s_waitcnt vmcnt(0)
	v_lshlrev_b32_e32 v12, 16, v12
	v_mul_f32_e32 v15, v14, v11
	v_mul_f32_e32 v11, v13, v11
	v_fma_f32 v13, v12, v13, -v15
	v_fmac_f32_e32 v11, v14, v12
	v_bfe_u32 v12, v13, 16, 1
	v_cmp_o_f32_e32 vcc, v13, v13
	v_bfe_u32 v14, v11, 16, 1
	v_cmp_o_f32_e64 s[0:1], v11, v11
	v_add3_u32 v12, v13, v12, s14
	v_add3_u32 v11, v11, v14, s14
	v_cndmask_b32_sdwa v12, v6, v12, vcc dst_sel:DWORD dst_unused:UNUSED_PAD src0_sel:DWORD src1_sel:WORD_1
	s_mov_b64 vcc, s[0:1]
	global_store_short v[7:8], v12, off
	v_cndmask_b32_sdwa v7, v6, v11, vcc dst_sel:DWORD dst_unused:UNUSED_PAD src0_sel:DWORD src1_sel:WORD_1
	global_store_short v[9:10], v7, off
	s_andn2_b64 exec, exec, s[4:5]
	s_cbranch_execnz .LBB16_6
.LBB16_7:
	s_endpgm
	.section	.rodata,"a",@progbits
	.p2align	6, 0x0
	.amdhsa_kernel _ZN4vllm23rotary_embedding_kernelIN3c108BFloat16ES2_Lb1EEEvPKlPT_S6_PKT0_illliiilb
		.amdhsa_group_segment_fixed_size 0
		.amdhsa_private_segment_fixed_size 0
		.amdhsa_kernarg_size 352
		.amdhsa_user_sgpr_count 6
		.amdhsa_user_sgpr_private_segment_buffer 1
		.amdhsa_user_sgpr_dispatch_ptr 0
		.amdhsa_user_sgpr_queue_ptr 0
		.amdhsa_user_sgpr_kernarg_segment_ptr 1
		.amdhsa_user_sgpr_dispatch_id 0
		.amdhsa_user_sgpr_flat_scratch_init 0
		.amdhsa_user_sgpr_private_segment_size 0
		.amdhsa_uses_dynamic_stack 0
		.amdhsa_system_sgpr_private_segment_wavefront_offset 0
		.amdhsa_system_sgpr_workgroup_id_x 1
		.amdhsa_system_sgpr_workgroup_id_y 0
		.amdhsa_system_sgpr_workgroup_id_z 0
		.amdhsa_system_sgpr_workgroup_info 0
		.amdhsa_system_vgpr_workitem_id 0
		.amdhsa_next_free_vgpr 18
		.amdhsa_next_free_sgpr 36
		.amdhsa_reserve_vcc 1
		.amdhsa_reserve_flat_scratch 0
		.amdhsa_float_round_mode_32 0
		.amdhsa_float_round_mode_16_64 0
		.amdhsa_float_denorm_mode_32 3
		.amdhsa_float_denorm_mode_16_64 3
		.amdhsa_dx10_clamp 1
		.amdhsa_ieee_mode 1
		.amdhsa_fp16_overflow 0
		.amdhsa_exception_fp_ieee_invalid_op 0
		.amdhsa_exception_fp_denorm_src 0
		.amdhsa_exception_fp_ieee_div_zero 0
		.amdhsa_exception_fp_ieee_overflow 0
		.amdhsa_exception_fp_ieee_underflow 0
		.amdhsa_exception_fp_ieee_inexact 0
		.amdhsa_exception_int_div_zero 0
	.end_amdhsa_kernel
	.section	.text._ZN4vllm23rotary_embedding_kernelIN3c108BFloat16ES2_Lb1EEEvPKlPT_S6_PKT0_illliiilb,"axG",@progbits,_ZN4vllm23rotary_embedding_kernelIN3c108BFloat16ES2_Lb1EEEvPKlPT_S6_PKT0_illliiilb,comdat
.Lfunc_end16:
	.size	_ZN4vllm23rotary_embedding_kernelIN3c108BFloat16ES2_Lb1EEEvPKlPT_S6_PKT0_illliiilb, .Lfunc_end16-_ZN4vllm23rotary_embedding_kernelIN3c108BFloat16ES2_Lb1EEEvPKlPT_S6_PKT0_illliiilb
                                        ; -- End function
	.set _ZN4vllm23rotary_embedding_kernelIN3c108BFloat16ES2_Lb1EEEvPKlPT_S6_PKT0_illliiilb.num_vgpr, 18
	.set _ZN4vllm23rotary_embedding_kernelIN3c108BFloat16ES2_Lb1EEEvPKlPT_S6_PKT0_illliiilb.num_agpr, 0
	.set _ZN4vllm23rotary_embedding_kernelIN3c108BFloat16ES2_Lb1EEEvPKlPT_S6_PKT0_illliiilb.numbered_sgpr, 36
	.set _ZN4vllm23rotary_embedding_kernelIN3c108BFloat16ES2_Lb1EEEvPKlPT_S6_PKT0_illliiilb.num_named_barrier, 0
	.set _ZN4vllm23rotary_embedding_kernelIN3c108BFloat16ES2_Lb1EEEvPKlPT_S6_PKT0_illliiilb.private_seg_size, 0
	.set _ZN4vllm23rotary_embedding_kernelIN3c108BFloat16ES2_Lb1EEEvPKlPT_S6_PKT0_illliiilb.uses_vcc, 1
	.set _ZN4vllm23rotary_embedding_kernelIN3c108BFloat16ES2_Lb1EEEvPKlPT_S6_PKT0_illliiilb.uses_flat_scratch, 0
	.set _ZN4vllm23rotary_embedding_kernelIN3c108BFloat16ES2_Lb1EEEvPKlPT_S6_PKT0_illliiilb.has_dyn_sized_stack, 0
	.set _ZN4vllm23rotary_embedding_kernelIN3c108BFloat16ES2_Lb1EEEvPKlPT_S6_PKT0_illliiilb.has_recursion, 0
	.set _ZN4vllm23rotary_embedding_kernelIN3c108BFloat16ES2_Lb1EEEvPKlPT_S6_PKT0_illliiilb.has_indirect_call, 0
	.section	.AMDGPU.csdata,"",@progbits
; Kernel info:
; codeLenInByte = 1272
; TotalNumSgprs: 40
; NumVgprs: 18
; ScratchSize: 0
; MemoryBound: 0
; FloatMode: 240
; IeeeMode: 1
; LDSByteSize: 0 bytes/workgroup (compile time only)
; SGPRBlocks: 4
; VGPRBlocks: 4
; NumSGPRsForWavesPerEU: 40
; NumVGPRsForWavesPerEU: 18
; Occupancy: 10
; WaveLimiterHint : 1
; COMPUTE_PGM_RSRC2:SCRATCH_EN: 0
; COMPUTE_PGM_RSRC2:USER_SGPR: 6
; COMPUTE_PGM_RSRC2:TRAP_HANDLER: 0
; COMPUTE_PGM_RSRC2:TGID_X_EN: 1
; COMPUTE_PGM_RSRC2:TGID_Y_EN: 0
; COMPUTE_PGM_RSRC2:TGID_Z_EN: 0
; COMPUTE_PGM_RSRC2:TIDIG_COMP_CNT: 0
	.section	.text._ZN4vllm23rotary_embedding_kernelIN3c108BFloat16ES2_Lb0EEEvPKlPT_S6_PKT0_illliiilb,"axG",@progbits,_ZN4vllm23rotary_embedding_kernelIN3c108BFloat16ES2_Lb0EEEvPKlPT_S6_PKT0_illliiilb,comdat
	.protected	_ZN4vllm23rotary_embedding_kernelIN3c108BFloat16ES2_Lb0EEEvPKlPT_S6_PKT0_illliiilb ; -- Begin function _ZN4vllm23rotary_embedding_kernelIN3c108BFloat16ES2_Lb0EEEvPKlPT_S6_PKT0_illliiilb
	.globl	_ZN4vllm23rotary_embedding_kernelIN3c108BFloat16ES2_Lb0EEEvPKlPT_S6_PKT0_illliiilb
	.p2align	8
	.type	_ZN4vllm23rotary_embedding_kernelIN3c108BFloat16ES2_Lb0EEEvPKlPT_S6_PKT0_illliiilb,@function
_ZN4vllm23rotary_embedding_kernelIN3c108BFloat16ES2_Lb0EEEvPKlPT_S6_PKT0_illliiilb: ; @_ZN4vllm23rotary_embedding_kernelIN3c108BFloat16ES2_Lb0EEEvPKlPT_S6_PKT0_illliiilb
; %bb.0:
	s_load_dword s25, s[4:5], 0x20
	s_load_dword s2, s[4:5], 0x58
	s_load_dwordx2 s[0:1], s[4:5], 0x0
	s_load_dwordx4 s[16:19], s[4:5], 0x10
	s_waitcnt lgkmcnt(0)
	s_ashr_i32 s24, s25, 31
	s_bitcmp1_b32 s2, 0
	s_cselect_b64 s[2:3], -1, 0
	s_ashr_i32 s7, s6, 31
	s_lshl_b64 s[8:9], s[6:7], 3
	s_add_u32 s0, s0, s8
	s_addc_u32 s1, s1, s9
	s_load_dwordx2 s[22:23], s[0:1], 0x0
	s_load_dwordx2 s[20:21], s[4:5], 0x50
	s_load_dwordx8 s[8:15], s[4:5], 0x28
	s_waitcnt lgkmcnt(0)
	s_mul_i32 s0, s22, s24
	s_mul_hi_u32 s1, s22, s25
	s_add_i32 s0, s1, s0
	s_mul_i32 s1, s23, s25
	s_add_i32 s1, s0, s1
	s_mul_i32 s0, s22, s25
	s_lshl_b64 s[0:1], s[0:1], 1
	s_add_u32 s24, s18, s0
	s_addc_u32 s26, s19, s1
	s_lshr_b32 s0, s25, 31
	s_add_i32 s25, s25, s0
	s_ashr_i32 s18, s25, 1
	s_ashr_i32 s19, s18, 31
	s_lshl_b64 s[0:1], s[18:19], 1
	s_add_u32 s25, s24, s0
	s_mul_i32 s14, s14, s18
	s_addc_u32 s27, s26, s1
	v_cmp_gt_i32_e32 vcc, s14, v0
	s_and_saveexec_b64 s[22:23], vcc
	s_cbranch_execz .LBB17_3
; %bb.1:
	s_load_dwordx2 s[0:1], s[4:5], 0x8
	s_load_dword s30, s[4:5], 0x6c
	s_mul_i32 s28, s8, s7
	s_mul_hi_u32 s29, s8, s6
	s_add_i32 s28, s29, s28
	s_mul_i32 s9, s9, s6
	s_add_i32 s9, s28, s9
	s_mul_i32 s8, s8, s6
	s_lshl_b64 s[8:9], s[8:9], 1
	s_waitcnt lgkmcnt(0)
	s_add_u32 s8, s0, s8
	s_addc_u32 s9, s1, s9
	s_lshl_b64 s[0:1], s[20:21], 1
	s_add_u32 s28, s8, s0
	s_addc_u32 s0, s9, s1
	s_abs_i32 s29, s18
	v_cvt_f32_u32_e32 v1, s29
	s_sub_i32 s1, 0, s29
	s_and_b32 s30, s30, 0xffff
	s_mov_b64 s[8:9], 0
	v_rcp_iflag_f32_e32 v1, v1
	s_sub_i32 s31, 0, s18
	s_lshl_b32 s34, s30, 1
	v_mov_b32_e32 v5, s26
	v_mul_f32_e32 v1, 0x4f7ffffe, v1
	v_cvt_u32_f32_e32 v2, v1
	v_lshlrev_b32_e32 v1, 1, v0
	v_mov_b32_e32 v6, s27
	s_movk_i32 s35, 0x7fff
	v_mul_lo_u32 v3, s1, v2
	s_lshl_b32 s1, s18, 1
	s_sub_i32 s33, 0, s1
	v_mov_b32_e32 v7, 0x7fc0
	v_mul_hi_u32 v4, v2, v3
	v_mov_b32_e32 v3, s0
	s_mov_b32 s36, 0x5040100
	v_mov_b32_e32 v8, 1
	v_add_u32_e32 v4, v2, v4
	v_mov_b32_e32 v2, v0
.LBB17_2:                               ; =>This Inner Loop Header: Depth=1
	v_sub_u32_e32 v10, 0, v2
	v_max_i32_e32 v10, v2, v10
	v_mul_hi_u32 v11, v10, v4
	v_ashrrev_i32_e32 v9, 31, v2
	v_xor_b32_e32 v9, s19, v9
	v_mul_lo_u32 v12, v11, s29
	v_add_u32_e32 v13, 1, v11
	v_sub_u32_e32 v10, v10, v12
	v_cmp_le_u32_e32 vcc, s29, v10
	v_subrev_u32_e32 v12, s29, v10
	v_cndmask_b32_e32 v11, v11, v13, vcc
	v_cndmask_b32_e32 v10, v10, v12, vcc
	v_add_u32_e32 v12, 1, v11
	v_cmp_le_u32_e32 vcc, s29, v10
	v_cndmask_b32_e32 v10, v11, v12, vcc
	v_xor_b32_e32 v10, v10, v9
	v_sub_u32_e32 v13, v10, v9
	v_mad_u64_u32 v[11:12], s[0:1], s31, v13, v[2:3]
	v_ashrrev_i32_e32 v15, 31, v13
	v_mul_lo_u32 v16, s13, v13
	v_mad_u64_u32 v[9:10], s[0:1], s12, v13, 0
	v_mul_lo_u32 v15, s12, v15
	v_ashrrev_i32_e32 v12, 31, v11
	v_lshlrev_b64 v[11:12], 1, v[11:12]
	v_mad_u64_u32 v[13:14], s[0:1], s33, v13, v[1:2]
	v_add3_u32 v10, v10, v15, v16
	v_add_co_u32_e32 v15, vcc, s24, v11
	v_addc_co_u32_e32 v16, vcc, v5, v12, vcc
	v_lshlrev_b64 v[9:10], 1, v[9:10]
	v_add_co_u32_e32 v11, vcc, s25, v11
	v_ashrrev_i32_e32 v14, 31, v13
	v_addc_co_u32_e32 v12, vcc, v6, v12, vcc
	v_lshlrev_b64 v[13:14], 1, v[13:14]
	v_add_co_u32_e32 v9, vcc, s28, v9
	v_addc_co_u32_e32 v10, vcc, v3, v10, vcc
	v_add_co_u32_e32 v9, vcc, v9, v13
	global_load_ushort v17, v[15:16], off
	global_load_ushort v18, v[11:12], off
	v_addc_co_u32_e32 v10, vcc, v10, v14, vcc
	global_load_dword v11, v[9:10], off
	v_add_u32_e32 v2, s30, v2
	v_cmp_le_i32_e32 vcc, s14, v2
	s_or_b64 s[8:9], vcc, s[8:9]
	v_add_u32_e32 v1, s34, v1
	s_waitcnt vmcnt(2)
	v_lshlrev_b32_e32 v12, 16, v17
	s_waitcnt vmcnt(1)
	v_lshlrev_b32_e32 v13, 16, v18
	v_cndmask_b32_e64 v13, v13, -v13, s[2:3]
	s_waitcnt vmcnt(0)
	v_lshlrev_b32_e32 v14, 16, v11
	v_and_b32_e32 v11, 0xffff0000, v11
	v_mul_f32_e32 v15, v12, v11
	v_mul_f32_e32 v11, v13, v11
	v_fma_f32 v11, v12, v14, -v11
	v_fmac_f32_e32 v15, v13, v14
	v_and_b32_sdwa v13, v11, v8 dst_sel:DWORD dst_unused:UNUSED_PAD src0_sel:WORD_1 src1_sel:DWORD
	v_and_b32_sdwa v12, v15, v8 dst_sel:DWORD dst_unused:UNUSED_PAD src0_sel:WORD_1 src1_sel:DWORD
	v_cmp_o_f32_e32 vcc, v11, v11
	v_cmp_o_f32_e64 s[0:1], v15, v15
	v_add3_u32 v11, v11, v13, s35
	v_add3_u32 v12, v15, v12, s35
	v_cndmask_b32_sdwa v11, v7, v11, vcc dst_sel:DWORD dst_unused:UNUSED_PAD src0_sel:DWORD src1_sel:WORD_1
	s_mov_b64 vcc, s[0:1]
	v_cndmask_b32_sdwa v12, v7, v12, vcc dst_sel:DWORD dst_unused:UNUSED_PAD src0_sel:DWORD src1_sel:WORD_1
	v_perm_b32 v11, v12, v11, s36
	global_store_dword v[9:10], v11, off
	s_andn2_b64 exec, exec, s[8:9]
	s_cbranch_execnz .LBB17_2
.LBB17_3:
	s_or_b64 exec, exec, s[22:23]
	s_cmp_lg_u64 s[16:17], 0
	s_cbranch_scc0 .LBB17_7
; %bb.4:
	s_mul_i32 s8, s15, s18
	v_cmp_gt_i32_e32 vcc, s8, v0
	s_and_saveexec_b64 s[0:1], vcc
	s_cbranch_execz .LBB17_7
; %bb.5:
	s_mul_i32 s0, s10, s7
	s_mul_hi_u32 s1, s10, s6
	s_add_i32 s0, s1, s0
	s_mul_i32 s1, s11, s6
	s_add_i32 s1, s0, s1
	s_mul_i32 s0, s10, s6
	s_lshl_b64 s[0:1], s[0:1], 1
	s_add_u32 s6, s16, s0
	s_addc_u32 s7, s17, s1
	s_lshl_b64 s[0:1], s[20:21], 1
	s_add_u32 s6, s6, s0
	s_addc_u32 s0, s7, s1
	s_abs_i32 s7, s18
	v_cvt_f32_u32_e32 v1, s7
	s_sub_i32 s9, 0, s7
	s_load_dword s1, s[4:5], 0x6c
	s_mov_b64 s[4:5], 0
	v_rcp_iflag_f32_e32 v1, v1
	s_sub_i32 s10, 0, s18
	v_mov_b32_e32 v5, s27
	s_movk_i32 s15, 0x7fff
	v_mul_f32_e32 v1, 0x4f7ffffe, v1
	v_cvt_u32_f32_e32 v3, v1
	v_lshlrev_b32_e32 v1, 1, v0
	v_mov_b32_e32 v6, 0x7fc0
	s_mov_b32 s16, 0x5040100
	v_mul_lo_u32 v2, s9, v3
	s_waitcnt lgkmcnt(0)
	s_and_b32 s9, s1, 0xffff
	s_lshl_b32 s1, s18, 1
	s_sub_i32 s11, 0, s1
	v_mul_hi_u32 v4, v3, v2
	s_lshl_b32 s14, s9, 1
	v_mov_b32_e32 v2, s0
	v_mov_b32_e32 v7, 1
	v_add_u32_e32 v3, v3, v4
	v_mov_b32_e32 v4, s26
.LBB17_6:                               ; =>This Inner Loop Header: Depth=1
	v_sub_u32_e32 v9, 0, v0
	v_max_i32_e32 v9, v0, v9
	v_mul_hi_u32 v10, v9, v3
	v_ashrrev_i32_e32 v8, 31, v0
	v_xor_b32_e32 v8, s19, v8
	v_mul_lo_u32 v11, v10, s7
	v_add_u32_e32 v12, 1, v10
	v_sub_u32_e32 v9, v9, v11
	v_cmp_le_u32_e32 vcc, s7, v9
	v_subrev_u32_e32 v11, s7, v9
	v_cndmask_b32_e32 v10, v10, v12, vcc
	v_cndmask_b32_e32 v9, v9, v11, vcc
	v_add_u32_e32 v11, 1, v10
	v_cmp_le_u32_e32 vcc, s7, v9
	v_cndmask_b32_e32 v9, v10, v11, vcc
	v_xor_b32_e32 v9, v9, v8
	v_sub_u32_e32 v12, v9, v8
	v_mad_u64_u32 v[10:11], s[0:1], s10, v12, v[0:1]
	v_ashrrev_i32_e32 v14, 31, v12
	v_mul_lo_u32 v15, s13, v12
	v_mad_u64_u32 v[8:9], s[0:1], s12, v12, 0
	v_mul_lo_u32 v14, s12, v14
	v_ashrrev_i32_e32 v11, 31, v10
	v_lshlrev_b64 v[10:11], 1, v[10:11]
	v_mad_u64_u32 v[12:13], s[0:1], s11, v12, v[1:2]
	v_add3_u32 v9, v9, v14, v15
	v_add_co_u32_e32 v14, vcc, s24, v10
	v_addc_co_u32_e32 v15, vcc, v4, v11, vcc
	v_lshlrev_b64 v[8:9], 1, v[8:9]
	v_add_co_u32_e32 v10, vcc, s25, v10
	v_ashrrev_i32_e32 v13, 31, v12
	v_addc_co_u32_e32 v11, vcc, v5, v11, vcc
	v_lshlrev_b64 v[12:13], 1, v[12:13]
	v_add_co_u32_e32 v8, vcc, s6, v8
	v_addc_co_u32_e32 v9, vcc, v2, v9, vcc
	v_add_co_u32_e32 v8, vcc, v8, v12
	global_load_ushort v16, v[14:15], off
	global_load_ushort v17, v[10:11], off
	v_addc_co_u32_e32 v9, vcc, v9, v13, vcc
	global_load_dword v10, v[8:9], off
	v_add_u32_e32 v0, s9, v0
	v_cmp_le_i32_e32 vcc, s8, v0
	s_or_b64 s[4:5], vcc, s[4:5]
	v_add_u32_e32 v1, s14, v1
	s_waitcnt vmcnt(2)
	v_lshlrev_b32_e32 v11, 16, v16
	s_waitcnt vmcnt(1)
	v_lshlrev_b32_e32 v12, 16, v17
	v_cndmask_b32_e64 v12, v12, -v12, s[2:3]
	s_waitcnt vmcnt(0)
	v_lshlrev_b32_e32 v13, 16, v10
	v_and_b32_e32 v10, 0xffff0000, v10
	v_mul_f32_e32 v14, v11, v10
	v_mul_f32_e32 v10, v12, v10
	v_fma_f32 v10, v11, v13, -v10
	v_fmac_f32_e32 v14, v12, v13
	v_and_b32_sdwa v12, v10, v7 dst_sel:DWORD dst_unused:UNUSED_PAD src0_sel:WORD_1 src1_sel:DWORD
	v_and_b32_sdwa v11, v14, v7 dst_sel:DWORD dst_unused:UNUSED_PAD src0_sel:WORD_1 src1_sel:DWORD
	v_cmp_o_f32_e32 vcc, v10, v10
	v_cmp_o_f32_e64 s[0:1], v14, v14
	v_add3_u32 v10, v10, v12, s15
	v_add3_u32 v11, v14, v11, s15
	v_cndmask_b32_sdwa v10, v6, v10, vcc dst_sel:DWORD dst_unused:UNUSED_PAD src0_sel:DWORD src1_sel:WORD_1
	s_mov_b64 vcc, s[0:1]
	v_cndmask_b32_sdwa v11, v6, v11, vcc dst_sel:DWORD dst_unused:UNUSED_PAD src0_sel:DWORD src1_sel:WORD_1
	v_perm_b32 v10, v11, v10, s16
	global_store_dword v[8:9], v10, off
	s_andn2_b64 exec, exec, s[4:5]
	s_cbranch_execnz .LBB17_6
.LBB17_7:
	s_endpgm
	.section	.rodata,"a",@progbits
	.p2align	6, 0x0
	.amdhsa_kernel _ZN4vllm23rotary_embedding_kernelIN3c108BFloat16ES2_Lb0EEEvPKlPT_S6_PKT0_illliiilb
		.amdhsa_group_segment_fixed_size 0
		.amdhsa_private_segment_fixed_size 0
		.amdhsa_kernarg_size 352
		.amdhsa_user_sgpr_count 6
		.amdhsa_user_sgpr_private_segment_buffer 1
		.amdhsa_user_sgpr_dispatch_ptr 0
		.amdhsa_user_sgpr_queue_ptr 0
		.amdhsa_user_sgpr_kernarg_segment_ptr 1
		.amdhsa_user_sgpr_dispatch_id 0
		.amdhsa_user_sgpr_flat_scratch_init 0
		.amdhsa_user_sgpr_private_segment_size 0
		.amdhsa_uses_dynamic_stack 0
		.amdhsa_system_sgpr_private_segment_wavefront_offset 0
		.amdhsa_system_sgpr_workgroup_id_x 1
		.amdhsa_system_sgpr_workgroup_id_y 0
		.amdhsa_system_sgpr_workgroup_id_z 0
		.amdhsa_system_sgpr_workgroup_info 0
		.amdhsa_system_vgpr_workitem_id 0
		.amdhsa_next_free_vgpr 19
		.amdhsa_next_free_sgpr 37
		.amdhsa_reserve_vcc 1
		.amdhsa_reserve_flat_scratch 0
		.amdhsa_float_round_mode_32 0
		.amdhsa_float_round_mode_16_64 0
		.amdhsa_float_denorm_mode_32 3
		.amdhsa_float_denorm_mode_16_64 3
		.amdhsa_dx10_clamp 1
		.amdhsa_ieee_mode 1
		.amdhsa_fp16_overflow 0
		.amdhsa_exception_fp_ieee_invalid_op 0
		.amdhsa_exception_fp_denorm_src 0
		.amdhsa_exception_fp_ieee_div_zero 0
		.amdhsa_exception_fp_ieee_overflow 0
		.amdhsa_exception_fp_ieee_underflow 0
		.amdhsa_exception_fp_ieee_inexact 0
		.amdhsa_exception_int_div_zero 0
	.end_amdhsa_kernel
	.section	.text._ZN4vllm23rotary_embedding_kernelIN3c108BFloat16ES2_Lb0EEEvPKlPT_S6_PKT0_illliiilb,"axG",@progbits,_ZN4vllm23rotary_embedding_kernelIN3c108BFloat16ES2_Lb0EEEvPKlPT_S6_PKT0_illliiilb,comdat
.Lfunc_end17:
	.size	_ZN4vllm23rotary_embedding_kernelIN3c108BFloat16ES2_Lb0EEEvPKlPT_S6_PKT0_illliiilb, .Lfunc_end17-_ZN4vllm23rotary_embedding_kernelIN3c108BFloat16ES2_Lb0EEEvPKlPT_S6_PKT0_illliiilb
                                        ; -- End function
	.set _ZN4vllm23rotary_embedding_kernelIN3c108BFloat16ES2_Lb0EEEvPKlPT_S6_PKT0_illliiilb.num_vgpr, 19
	.set _ZN4vllm23rotary_embedding_kernelIN3c108BFloat16ES2_Lb0EEEvPKlPT_S6_PKT0_illliiilb.num_agpr, 0
	.set _ZN4vllm23rotary_embedding_kernelIN3c108BFloat16ES2_Lb0EEEvPKlPT_S6_PKT0_illliiilb.numbered_sgpr, 37
	.set _ZN4vllm23rotary_embedding_kernelIN3c108BFloat16ES2_Lb0EEEvPKlPT_S6_PKT0_illliiilb.num_named_barrier, 0
	.set _ZN4vllm23rotary_embedding_kernelIN3c108BFloat16ES2_Lb0EEEvPKlPT_S6_PKT0_illliiilb.private_seg_size, 0
	.set _ZN4vllm23rotary_embedding_kernelIN3c108BFloat16ES2_Lb0EEEvPKlPT_S6_PKT0_illliiilb.uses_vcc, 1
	.set _ZN4vllm23rotary_embedding_kernelIN3c108BFloat16ES2_Lb0EEEvPKlPT_S6_PKT0_illliiilb.uses_flat_scratch, 0
	.set _ZN4vllm23rotary_embedding_kernelIN3c108BFloat16ES2_Lb0EEEvPKlPT_S6_PKT0_illliiilb.has_dyn_sized_stack, 0
	.set _ZN4vllm23rotary_embedding_kernelIN3c108BFloat16ES2_Lb0EEEvPKlPT_S6_PKT0_illliiilb.has_recursion, 0
	.set _ZN4vllm23rotary_embedding_kernelIN3c108BFloat16ES2_Lb0EEEvPKlPT_S6_PKT0_illliiilb.has_indirect_call, 0
	.section	.AMDGPU.csdata,"",@progbits
; Kernel info:
; codeLenInByte = 1328
; TotalNumSgprs: 41
; NumVgprs: 19
; ScratchSize: 0
; MemoryBound: 0
; FloatMode: 240
; IeeeMode: 1
; LDSByteSize: 0 bytes/workgroup (compile time only)
; SGPRBlocks: 5
; VGPRBlocks: 4
; NumSGPRsForWavesPerEU: 41
; NumVGPRsForWavesPerEU: 19
; Occupancy: 10
; WaveLimiterHint : 1
; COMPUTE_PGM_RSRC2:SCRATCH_EN: 0
; COMPUTE_PGM_RSRC2:USER_SGPR: 6
; COMPUTE_PGM_RSRC2:TRAP_HANDLER: 0
; COMPUTE_PGM_RSRC2:TGID_X_EN: 1
; COMPUTE_PGM_RSRC2:TGID_Y_EN: 0
; COMPUTE_PGM_RSRC2:TGID_Z_EN: 0
; COMPUTE_PGM_RSRC2:TIDIG_COMP_CNT: 0
	.section	.AMDGPU.gpr_maximums,"",@progbits
	.set amdgpu.max_num_vgpr, 0
	.set amdgpu.max_num_agpr, 0
	.set amdgpu.max_num_sgpr, 0
	.section	.AMDGPU.csdata,"",@progbits
	.type	__hip_cuid_118fa1a2437e789f,@object ; @__hip_cuid_118fa1a2437e789f
	.section	.bss,"aw",@nobits
	.globl	__hip_cuid_118fa1a2437e789f
__hip_cuid_118fa1a2437e789f:
	.byte	0                               ; 0x0
	.size	__hip_cuid_118fa1a2437e789f, 1

	.ident	"AMD clang version 22.0.0git (https://github.com/RadeonOpenCompute/llvm-project roc-7.2.4 26084 f58b06dce1f9c15707c5f808fd002e18c2accf7e)"
	.section	".note.GNU-stack","",@progbits
	.addrsig
	.addrsig_sym __hip_cuid_118fa1a2437e789f
	.amdgpu_metadata
---
amdhsa.kernels:
  - .args:
      - .actual_access:  read_only
        .address_space:  global
        .offset:         0
        .size:           8
        .value_kind:     global_buffer
      - .address_space:  global
        .offset:         8
        .size:           8
        .value_kind:     global_buffer
      - .address_space:  global
        .offset:         16
        .size:           8
        .value_kind:     global_buffer
      - .actual_access:  read_only
        .address_space:  global
        .offset:         24
        .size:           8
        .value_kind:     global_buffer
      - .offset:         32
        .size:           4
        .value_kind:     by_value
      - .offset:         40
        .size:           8
        .value_kind:     by_value
      - .offset:         48
        .size:           8
        .value_kind:     by_value
      - .offset:         56
        .size:           8
        .value_kind:     by_value
      - .offset:         64
        .size:           4
        .value_kind:     by_value
      - .offset:         68
        .size:           4
        .value_kind:     by_value
      - .offset:         72
        .size:           4
        .value_kind:     by_value
      - .offset:         80
        .size:           8
        .value_kind:     by_value
      - .offset:         88
        .size:           1
        .value_kind:     by_value
      - .offset:         96
        .size:           4
        .value_kind:     hidden_block_count_x
      - .offset:         100
        .size:           4
        .value_kind:     hidden_block_count_y
      - .offset:         104
        .size:           4
        .value_kind:     hidden_block_count_z
      - .offset:         108
        .size:           2
        .value_kind:     hidden_group_size_x
      - .offset:         110
        .size:           2
        .value_kind:     hidden_group_size_y
      - .offset:         112
        .size:           2
        .value_kind:     hidden_group_size_z
      - .offset:         114
        .size:           2
        .value_kind:     hidden_remainder_x
      - .offset:         116
        .size:           2
        .value_kind:     hidden_remainder_y
      - .offset:         118
        .size:           2
        .value_kind:     hidden_remainder_z
      - .offset:         136
        .size:           8
        .value_kind:     hidden_global_offset_x
      - .offset:         144
        .size:           8
        .value_kind:     hidden_global_offset_y
      - .offset:         152
        .size:           8
        .value_kind:     hidden_global_offset_z
      - .offset:         160
        .size:           2
        .value_kind:     hidden_grid_dims
    .group_segment_fixed_size: 0
    .kernarg_segment_align: 8
    .kernarg_segment_size: 352
    .language:       OpenCL C
    .language_version:
      - 2
      - 0
    .max_flat_workgroup_size: 1024
    .name:           _ZN4vllm23rotary_embedding_kernelIffLb1EEEvPKlPT_S4_PKT0_illliiilb
    .private_segment_fixed_size: 0
    .sgpr_count:     40
    .sgpr_spill_count: 0
    .symbol:         _ZN4vllm23rotary_embedding_kernelIffLb1EEEvPKlPT_S4_PKT0_illliiilb.kd
    .uniform_work_group_size: 1
    .uses_dynamic_stack: false
    .vgpr_count:     17
    .vgpr_spill_count: 0
    .wavefront_size: 64
  - .args:
      - .actual_access:  read_only
        .address_space:  global
        .offset:         0
        .size:           8
        .value_kind:     global_buffer
      - .address_space:  global
        .offset:         8
        .size:           8
        .value_kind:     global_buffer
      - .address_space:  global
        .offset:         16
        .size:           8
        .value_kind:     global_buffer
      - .actual_access:  read_only
        .address_space:  global
        .offset:         24
        .size:           8
        .value_kind:     global_buffer
      - .offset:         32
        .size:           4
        .value_kind:     by_value
      - .offset:         40
        .size:           8
        .value_kind:     by_value
      - .offset:         48
        .size:           8
        .value_kind:     by_value
      - .offset:         56
        .size:           8
        .value_kind:     by_value
      - .offset:         64
        .size:           4
        .value_kind:     by_value
      - .offset:         68
        .size:           4
        .value_kind:     by_value
      - .offset:         72
        .size:           4
        .value_kind:     by_value
      - .offset:         80
        .size:           8
        .value_kind:     by_value
      - .offset:         88
        .size:           1
        .value_kind:     by_value
      - .offset:         96
        .size:           4
        .value_kind:     hidden_block_count_x
      - .offset:         100
        .size:           4
        .value_kind:     hidden_block_count_y
      - .offset:         104
        .size:           4
        .value_kind:     hidden_block_count_z
      - .offset:         108
        .size:           2
        .value_kind:     hidden_group_size_x
      - .offset:         110
        .size:           2
        .value_kind:     hidden_group_size_y
      - .offset:         112
        .size:           2
        .value_kind:     hidden_group_size_z
      - .offset:         114
        .size:           2
        .value_kind:     hidden_remainder_x
      - .offset:         116
        .size:           2
        .value_kind:     hidden_remainder_y
      - .offset:         118
        .size:           2
        .value_kind:     hidden_remainder_z
      - .offset:         136
        .size:           8
        .value_kind:     hidden_global_offset_x
      - .offset:         144
        .size:           8
        .value_kind:     hidden_global_offset_y
      - .offset:         152
        .size:           8
        .value_kind:     hidden_global_offset_z
      - .offset:         160
        .size:           2
        .value_kind:     hidden_grid_dims
    .group_segment_fixed_size: 0
    .kernarg_segment_align: 8
    .kernarg_segment_size: 352
    .language:       OpenCL C
    .language_version:
      - 2
      - 0
    .max_flat_workgroup_size: 1024
    .name:           _ZN4vllm23rotary_embedding_kernelIffLb0EEEvPKlPT_S4_PKT0_illliiilb
    .private_segment_fixed_size: 0
    .sgpr_count:     40
    .sgpr_spill_count: 0
    .symbol:         _ZN4vllm23rotary_embedding_kernelIffLb0EEEvPKlPT_S4_PKT0_illliiilb.kd
    .uniform_work_group_size: 1
    .uses_dynamic_stack: false
    .vgpr_count:     17
    .vgpr_spill_count: 0
    .wavefront_size: 64
  - .args:
      - .actual_access:  read_only
        .address_space:  global
        .offset:         0
        .size:           8
        .value_kind:     global_buffer
      - .address_space:  global
        .offset:         8
        .size:           8
        .value_kind:     global_buffer
      - .address_space:  global
        .offset:         16
        .size:           8
        .value_kind:     global_buffer
      - .actual_access:  read_only
        .address_space:  global
        .offset:         24
        .size:           8
        .value_kind:     global_buffer
      - .offset:         32
        .size:           4
        .value_kind:     by_value
      - .offset:         40
        .size:           8
        .value_kind:     by_value
      - .offset:         48
        .size:           8
        .value_kind:     by_value
      - .offset:         56
        .size:           8
        .value_kind:     by_value
      - .offset:         64
        .size:           4
        .value_kind:     by_value
      - .offset:         68
        .size:           4
        .value_kind:     by_value
      - .offset:         72
        .size:           4
        .value_kind:     by_value
      - .offset:         80
        .size:           8
        .value_kind:     by_value
      - .offset:         88
        .size:           1
        .value_kind:     by_value
      - .offset:         96
        .size:           4
        .value_kind:     hidden_block_count_x
      - .offset:         100
        .size:           4
        .value_kind:     hidden_block_count_y
      - .offset:         104
        .size:           4
        .value_kind:     hidden_block_count_z
      - .offset:         108
        .size:           2
        .value_kind:     hidden_group_size_x
      - .offset:         110
        .size:           2
        .value_kind:     hidden_group_size_y
      - .offset:         112
        .size:           2
        .value_kind:     hidden_group_size_z
      - .offset:         114
        .size:           2
        .value_kind:     hidden_remainder_x
      - .offset:         116
        .size:           2
        .value_kind:     hidden_remainder_y
      - .offset:         118
        .size:           2
        .value_kind:     hidden_remainder_z
      - .offset:         136
        .size:           8
        .value_kind:     hidden_global_offset_x
      - .offset:         144
        .size:           8
        .value_kind:     hidden_global_offset_y
      - .offset:         152
        .size:           8
        .value_kind:     hidden_global_offset_z
      - .offset:         160
        .size:           2
        .value_kind:     hidden_grid_dims
    .group_segment_fixed_size: 0
    .kernarg_segment_align: 8
    .kernarg_segment_size: 352
    .language:       OpenCL C
    .language_version:
      - 2
      - 0
    .max_flat_workgroup_size: 1024
    .name:           _ZN4vllm23rotary_embedding_kernelIfN3c104HalfELb1EEEvPKlPT_S6_PKT0_illliiilb
    .private_segment_fixed_size: 0
    .sgpr_count:     40
    .sgpr_spill_count: 0
    .symbol:         _ZN4vllm23rotary_embedding_kernelIfN3c104HalfELb1EEEvPKlPT_S6_PKT0_illliiilb.kd
    .uniform_work_group_size: 1
    .uses_dynamic_stack: false
    .vgpr_count:     17
    .vgpr_spill_count: 0
    .wavefront_size: 64
  - .args:
      - .actual_access:  read_only
        .address_space:  global
        .offset:         0
        .size:           8
        .value_kind:     global_buffer
      - .address_space:  global
        .offset:         8
        .size:           8
        .value_kind:     global_buffer
      - .address_space:  global
        .offset:         16
        .size:           8
        .value_kind:     global_buffer
      - .actual_access:  read_only
        .address_space:  global
        .offset:         24
        .size:           8
        .value_kind:     global_buffer
      - .offset:         32
        .size:           4
        .value_kind:     by_value
      - .offset:         40
        .size:           8
        .value_kind:     by_value
      - .offset:         48
        .size:           8
        .value_kind:     by_value
      - .offset:         56
        .size:           8
        .value_kind:     by_value
      - .offset:         64
        .size:           4
        .value_kind:     by_value
      - .offset:         68
        .size:           4
        .value_kind:     by_value
      - .offset:         72
        .size:           4
        .value_kind:     by_value
      - .offset:         80
        .size:           8
        .value_kind:     by_value
      - .offset:         88
        .size:           1
        .value_kind:     by_value
      - .offset:         96
        .size:           4
        .value_kind:     hidden_block_count_x
      - .offset:         100
        .size:           4
        .value_kind:     hidden_block_count_y
      - .offset:         104
        .size:           4
        .value_kind:     hidden_block_count_z
      - .offset:         108
        .size:           2
        .value_kind:     hidden_group_size_x
      - .offset:         110
        .size:           2
        .value_kind:     hidden_group_size_y
      - .offset:         112
        .size:           2
        .value_kind:     hidden_group_size_z
      - .offset:         114
        .size:           2
        .value_kind:     hidden_remainder_x
      - .offset:         116
        .size:           2
        .value_kind:     hidden_remainder_y
      - .offset:         118
        .size:           2
        .value_kind:     hidden_remainder_z
      - .offset:         136
        .size:           8
        .value_kind:     hidden_global_offset_x
      - .offset:         144
        .size:           8
        .value_kind:     hidden_global_offset_y
      - .offset:         152
        .size:           8
        .value_kind:     hidden_global_offset_z
      - .offset:         160
        .size:           2
        .value_kind:     hidden_grid_dims
    .group_segment_fixed_size: 0
    .kernarg_segment_align: 8
    .kernarg_segment_size: 352
    .language:       OpenCL C
    .language_version:
      - 2
      - 0
    .max_flat_workgroup_size: 1024
    .name:           _ZN4vllm23rotary_embedding_kernelIfN3c104HalfELb0EEEvPKlPT_S6_PKT0_illliiilb
    .private_segment_fixed_size: 0
    .sgpr_count:     40
    .sgpr_spill_count: 0
    .symbol:         _ZN4vllm23rotary_embedding_kernelIfN3c104HalfELb0EEEvPKlPT_S6_PKT0_illliiilb.kd
    .uniform_work_group_size: 1
    .uses_dynamic_stack: false
    .vgpr_count:     17
    .vgpr_spill_count: 0
    .wavefront_size: 64
  - .args:
      - .actual_access:  read_only
        .address_space:  global
        .offset:         0
        .size:           8
        .value_kind:     global_buffer
      - .address_space:  global
        .offset:         8
        .size:           8
        .value_kind:     global_buffer
      - .address_space:  global
        .offset:         16
        .size:           8
        .value_kind:     global_buffer
      - .actual_access:  read_only
        .address_space:  global
        .offset:         24
        .size:           8
        .value_kind:     global_buffer
      - .offset:         32
        .size:           4
        .value_kind:     by_value
      - .offset:         40
        .size:           8
        .value_kind:     by_value
      - .offset:         48
        .size:           8
        .value_kind:     by_value
      - .offset:         56
        .size:           8
        .value_kind:     by_value
      - .offset:         64
        .size:           4
        .value_kind:     by_value
      - .offset:         68
        .size:           4
        .value_kind:     by_value
      - .offset:         72
        .size:           4
        .value_kind:     by_value
      - .offset:         80
        .size:           8
        .value_kind:     by_value
      - .offset:         88
        .size:           1
        .value_kind:     by_value
      - .offset:         96
        .size:           4
        .value_kind:     hidden_block_count_x
      - .offset:         100
        .size:           4
        .value_kind:     hidden_block_count_y
      - .offset:         104
        .size:           4
        .value_kind:     hidden_block_count_z
      - .offset:         108
        .size:           2
        .value_kind:     hidden_group_size_x
      - .offset:         110
        .size:           2
        .value_kind:     hidden_group_size_y
      - .offset:         112
        .size:           2
        .value_kind:     hidden_group_size_z
      - .offset:         114
        .size:           2
        .value_kind:     hidden_remainder_x
      - .offset:         116
        .size:           2
        .value_kind:     hidden_remainder_y
      - .offset:         118
        .size:           2
        .value_kind:     hidden_remainder_z
      - .offset:         136
        .size:           8
        .value_kind:     hidden_global_offset_x
      - .offset:         144
        .size:           8
        .value_kind:     hidden_global_offset_y
      - .offset:         152
        .size:           8
        .value_kind:     hidden_global_offset_z
      - .offset:         160
        .size:           2
        .value_kind:     hidden_grid_dims
    .group_segment_fixed_size: 0
    .kernarg_segment_align: 8
    .kernarg_segment_size: 352
    .language:       OpenCL C
    .language_version:
      - 2
      - 0
    .max_flat_workgroup_size: 1024
    .name:           _ZN4vllm23rotary_embedding_kernelIfN3c108BFloat16ELb1EEEvPKlPT_S6_PKT0_illliiilb
    .private_segment_fixed_size: 0
    .sgpr_count:     40
    .sgpr_spill_count: 0
    .symbol:         _ZN4vllm23rotary_embedding_kernelIfN3c108BFloat16ELb1EEEvPKlPT_S6_PKT0_illliiilb.kd
    .uniform_work_group_size: 1
    .uses_dynamic_stack: false
    .vgpr_count:     17
    .vgpr_spill_count: 0
    .wavefront_size: 64
  - .args:
      - .actual_access:  read_only
        .address_space:  global
        .offset:         0
        .size:           8
        .value_kind:     global_buffer
      - .address_space:  global
        .offset:         8
        .size:           8
        .value_kind:     global_buffer
      - .address_space:  global
        .offset:         16
        .size:           8
        .value_kind:     global_buffer
      - .actual_access:  read_only
        .address_space:  global
        .offset:         24
        .size:           8
        .value_kind:     global_buffer
      - .offset:         32
        .size:           4
        .value_kind:     by_value
      - .offset:         40
        .size:           8
        .value_kind:     by_value
      - .offset:         48
        .size:           8
        .value_kind:     by_value
      - .offset:         56
        .size:           8
        .value_kind:     by_value
      - .offset:         64
        .size:           4
        .value_kind:     by_value
      - .offset:         68
        .size:           4
        .value_kind:     by_value
      - .offset:         72
        .size:           4
        .value_kind:     by_value
      - .offset:         80
        .size:           8
        .value_kind:     by_value
      - .offset:         88
        .size:           1
        .value_kind:     by_value
      - .offset:         96
        .size:           4
        .value_kind:     hidden_block_count_x
      - .offset:         100
        .size:           4
        .value_kind:     hidden_block_count_y
      - .offset:         104
        .size:           4
        .value_kind:     hidden_block_count_z
      - .offset:         108
        .size:           2
        .value_kind:     hidden_group_size_x
      - .offset:         110
        .size:           2
        .value_kind:     hidden_group_size_y
      - .offset:         112
        .size:           2
        .value_kind:     hidden_group_size_z
      - .offset:         114
        .size:           2
        .value_kind:     hidden_remainder_x
      - .offset:         116
        .size:           2
        .value_kind:     hidden_remainder_y
      - .offset:         118
        .size:           2
        .value_kind:     hidden_remainder_z
      - .offset:         136
        .size:           8
        .value_kind:     hidden_global_offset_x
      - .offset:         144
        .size:           8
        .value_kind:     hidden_global_offset_y
      - .offset:         152
        .size:           8
        .value_kind:     hidden_global_offset_z
      - .offset:         160
        .size:           2
        .value_kind:     hidden_grid_dims
    .group_segment_fixed_size: 0
    .kernarg_segment_align: 8
    .kernarg_segment_size: 352
    .language:       OpenCL C
    .language_version:
      - 2
      - 0
    .max_flat_workgroup_size: 1024
    .name:           _ZN4vllm23rotary_embedding_kernelIfN3c108BFloat16ELb0EEEvPKlPT_S6_PKT0_illliiilb
    .private_segment_fixed_size: 0
    .sgpr_count:     40
    .sgpr_spill_count: 0
    .symbol:         _ZN4vllm23rotary_embedding_kernelIfN3c108BFloat16ELb0EEEvPKlPT_S6_PKT0_illliiilb.kd
    .uniform_work_group_size: 1
    .uses_dynamic_stack: false
    .vgpr_count:     17
    .vgpr_spill_count: 0
    .wavefront_size: 64
  - .args:
      - .actual_access:  read_only
        .address_space:  global
        .offset:         0
        .size:           8
        .value_kind:     global_buffer
      - .address_space:  global
        .offset:         8
        .size:           8
        .value_kind:     global_buffer
      - .address_space:  global
        .offset:         16
        .size:           8
        .value_kind:     global_buffer
      - .actual_access:  read_only
        .address_space:  global
        .offset:         24
        .size:           8
        .value_kind:     global_buffer
      - .offset:         32
        .size:           4
        .value_kind:     by_value
      - .offset:         40
        .size:           8
        .value_kind:     by_value
      - .offset:         48
        .size:           8
        .value_kind:     by_value
      - .offset:         56
        .size:           8
        .value_kind:     by_value
      - .offset:         64
        .size:           4
        .value_kind:     by_value
      - .offset:         68
        .size:           4
        .value_kind:     by_value
      - .offset:         72
        .size:           4
        .value_kind:     by_value
      - .offset:         80
        .size:           8
        .value_kind:     by_value
      - .offset:         88
        .size:           1
        .value_kind:     by_value
      - .offset:         96
        .size:           4
        .value_kind:     hidden_block_count_x
      - .offset:         100
        .size:           4
        .value_kind:     hidden_block_count_y
      - .offset:         104
        .size:           4
        .value_kind:     hidden_block_count_z
      - .offset:         108
        .size:           2
        .value_kind:     hidden_group_size_x
      - .offset:         110
        .size:           2
        .value_kind:     hidden_group_size_y
      - .offset:         112
        .size:           2
        .value_kind:     hidden_group_size_z
      - .offset:         114
        .size:           2
        .value_kind:     hidden_remainder_x
      - .offset:         116
        .size:           2
        .value_kind:     hidden_remainder_y
      - .offset:         118
        .size:           2
        .value_kind:     hidden_remainder_z
      - .offset:         136
        .size:           8
        .value_kind:     hidden_global_offset_x
      - .offset:         144
        .size:           8
        .value_kind:     hidden_global_offset_y
      - .offset:         152
        .size:           8
        .value_kind:     hidden_global_offset_z
      - .offset:         160
        .size:           2
        .value_kind:     hidden_grid_dims
    .group_segment_fixed_size: 0
    .kernarg_segment_align: 8
    .kernarg_segment_size: 352
    .language:       OpenCL C
    .language_version:
      - 2
      - 0
    .max_flat_workgroup_size: 1024
    .name:           _ZN4vllm23rotary_embedding_kernelIN3c104HalfEfLb1EEEvPKlPT_S6_PKT0_illliiilb
    .private_segment_fixed_size: 0
    .sgpr_count:     40
    .sgpr_spill_count: 0
    .symbol:         _ZN4vllm23rotary_embedding_kernelIN3c104HalfEfLb1EEEvPKlPT_S6_PKT0_illliiilb.kd
    .uniform_work_group_size: 1
    .uses_dynamic_stack: false
    .vgpr_count:     19
    .vgpr_spill_count: 0
    .wavefront_size: 64
  - .args:
      - .actual_access:  read_only
        .address_space:  global
        .offset:         0
        .size:           8
        .value_kind:     global_buffer
      - .address_space:  global
        .offset:         8
        .size:           8
        .value_kind:     global_buffer
      - .address_space:  global
        .offset:         16
        .size:           8
        .value_kind:     global_buffer
      - .actual_access:  read_only
        .address_space:  global
        .offset:         24
        .size:           8
        .value_kind:     global_buffer
      - .offset:         32
        .size:           4
        .value_kind:     by_value
      - .offset:         40
        .size:           8
        .value_kind:     by_value
      - .offset:         48
        .size:           8
        .value_kind:     by_value
      - .offset:         56
        .size:           8
        .value_kind:     by_value
      - .offset:         64
        .size:           4
        .value_kind:     by_value
      - .offset:         68
        .size:           4
        .value_kind:     by_value
      - .offset:         72
        .size:           4
        .value_kind:     by_value
      - .offset:         80
        .size:           8
        .value_kind:     by_value
      - .offset:         88
        .size:           1
        .value_kind:     by_value
      - .offset:         96
        .size:           4
        .value_kind:     hidden_block_count_x
      - .offset:         100
        .size:           4
        .value_kind:     hidden_block_count_y
      - .offset:         104
        .size:           4
        .value_kind:     hidden_block_count_z
      - .offset:         108
        .size:           2
        .value_kind:     hidden_group_size_x
      - .offset:         110
        .size:           2
        .value_kind:     hidden_group_size_y
      - .offset:         112
        .size:           2
        .value_kind:     hidden_group_size_z
      - .offset:         114
        .size:           2
        .value_kind:     hidden_remainder_x
      - .offset:         116
        .size:           2
        .value_kind:     hidden_remainder_y
      - .offset:         118
        .size:           2
        .value_kind:     hidden_remainder_z
      - .offset:         136
        .size:           8
        .value_kind:     hidden_global_offset_x
      - .offset:         144
        .size:           8
        .value_kind:     hidden_global_offset_y
      - .offset:         152
        .size:           8
        .value_kind:     hidden_global_offset_z
      - .offset:         160
        .size:           2
        .value_kind:     hidden_grid_dims
    .group_segment_fixed_size: 0
    .kernarg_segment_align: 8
    .kernarg_segment_size: 352
    .language:       OpenCL C
    .language_version:
      - 2
      - 0
    .max_flat_workgroup_size: 1024
    .name:           _ZN4vllm23rotary_embedding_kernelIN3c104HalfEfLb0EEEvPKlPT_S6_PKT0_illliiilb
    .private_segment_fixed_size: 0
    .sgpr_count:     39
    .sgpr_spill_count: 0
    .symbol:         _ZN4vllm23rotary_embedding_kernelIN3c104HalfEfLb0EEEvPKlPT_S6_PKT0_illliiilb.kd
    .uniform_work_group_size: 1
    .uses_dynamic_stack: false
    .vgpr_count:     16
    .vgpr_spill_count: 0
    .wavefront_size: 64
  - .args:
      - .actual_access:  read_only
        .address_space:  global
        .offset:         0
        .size:           8
        .value_kind:     global_buffer
      - .address_space:  global
        .offset:         8
        .size:           8
        .value_kind:     global_buffer
      - .address_space:  global
        .offset:         16
        .size:           8
        .value_kind:     global_buffer
      - .actual_access:  read_only
        .address_space:  global
        .offset:         24
        .size:           8
        .value_kind:     global_buffer
      - .offset:         32
        .size:           4
        .value_kind:     by_value
      - .offset:         40
        .size:           8
        .value_kind:     by_value
      - .offset:         48
        .size:           8
        .value_kind:     by_value
      - .offset:         56
        .size:           8
        .value_kind:     by_value
      - .offset:         64
        .size:           4
        .value_kind:     by_value
      - .offset:         68
        .size:           4
        .value_kind:     by_value
      - .offset:         72
        .size:           4
        .value_kind:     by_value
      - .offset:         80
        .size:           8
        .value_kind:     by_value
      - .offset:         88
        .size:           1
        .value_kind:     by_value
      - .offset:         96
        .size:           4
        .value_kind:     hidden_block_count_x
      - .offset:         100
        .size:           4
        .value_kind:     hidden_block_count_y
      - .offset:         104
        .size:           4
        .value_kind:     hidden_block_count_z
      - .offset:         108
        .size:           2
        .value_kind:     hidden_group_size_x
      - .offset:         110
        .size:           2
        .value_kind:     hidden_group_size_y
      - .offset:         112
        .size:           2
        .value_kind:     hidden_group_size_z
      - .offset:         114
        .size:           2
        .value_kind:     hidden_remainder_x
      - .offset:         116
        .size:           2
        .value_kind:     hidden_remainder_y
      - .offset:         118
        .size:           2
        .value_kind:     hidden_remainder_z
      - .offset:         136
        .size:           8
        .value_kind:     hidden_global_offset_x
      - .offset:         144
        .size:           8
        .value_kind:     hidden_global_offset_y
      - .offset:         152
        .size:           8
        .value_kind:     hidden_global_offset_z
      - .offset:         160
        .size:           2
        .value_kind:     hidden_grid_dims
    .group_segment_fixed_size: 0
    .kernarg_segment_align: 8
    .kernarg_segment_size: 352
    .language:       OpenCL C
    .language_version:
      - 2
      - 0
    .max_flat_workgroup_size: 1024
    .name:           _ZN4vllm23rotary_embedding_kernelIN3c104HalfES2_Lb1EEEvPKlPT_S6_PKT0_illliiilb
    .private_segment_fixed_size: 0
    .sgpr_count:     40
    .sgpr_spill_count: 0
    .symbol:         _ZN4vllm23rotary_embedding_kernelIN3c104HalfES2_Lb1EEEvPKlPT_S6_PKT0_illliiilb.kd
    .uniform_work_group_size: 1
    .uses_dynamic_stack: false
    .vgpr_count:     17
    .vgpr_spill_count: 0
    .wavefront_size: 64
  - .args:
      - .actual_access:  read_only
        .address_space:  global
        .offset:         0
        .size:           8
        .value_kind:     global_buffer
      - .address_space:  global
        .offset:         8
        .size:           8
        .value_kind:     global_buffer
      - .address_space:  global
        .offset:         16
        .size:           8
        .value_kind:     global_buffer
      - .actual_access:  read_only
        .address_space:  global
        .offset:         24
        .size:           8
        .value_kind:     global_buffer
      - .offset:         32
        .size:           4
        .value_kind:     by_value
      - .offset:         40
        .size:           8
        .value_kind:     by_value
      - .offset:         48
        .size:           8
        .value_kind:     by_value
      - .offset:         56
        .size:           8
        .value_kind:     by_value
      - .offset:         64
        .size:           4
        .value_kind:     by_value
      - .offset:         68
        .size:           4
        .value_kind:     by_value
      - .offset:         72
        .size:           4
        .value_kind:     by_value
      - .offset:         80
        .size:           8
        .value_kind:     by_value
      - .offset:         88
        .size:           1
        .value_kind:     by_value
      - .offset:         96
        .size:           4
        .value_kind:     hidden_block_count_x
      - .offset:         100
        .size:           4
        .value_kind:     hidden_block_count_y
      - .offset:         104
        .size:           4
        .value_kind:     hidden_block_count_z
      - .offset:         108
        .size:           2
        .value_kind:     hidden_group_size_x
      - .offset:         110
        .size:           2
        .value_kind:     hidden_group_size_y
      - .offset:         112
        .size:           2
        .value_kind:     hidden_group_size_z
      - .offset:         114
        .size:           2
        .value_kind:     hidden_remainder_x
      - .offset:         116
        .size:           2
        .value_kind:     hidden_remainder_y
      - .offset:         118
        .size:           2
        .value_kind:     hidden_remainder_z
      - .offset:         136
        .size:           8
        .value_kind:     hidden_global_offset_x
      - .offset:         144
        .size:           8
        .value_kind:     hidden_global_offset_y
      - .offset:         152
        .size:           8
        .value_kind:     hidden_global_offset_z
      - .offset:         160
        .size:           2
        .value_kind:     hidden_grid_dims
    .group_segment_fixed_size: 0
    .kernarg_segment_align: 8
    .kernarg_segment_size: 352
    .language:       OpenCL C
    .language_version:
      - 2
      - 0
    .max_flat_workgroup_size: 1024
    .name:           _ZN4vllm23rotary_embedding_kernelIN3c104HalfES2_Lb0EEEvPKlPT_S6_PKT0_illliiilb
    .private_segment_fixed_size: 0
    .sgpr_count:     40
    .sgpr_spill_count: 0
    .symbol:         _ZN4vllm23rotary_embedding_kernelIN3c104HalfES2_Lb0EEEvPKlPT_S6_PKT0_illliiilb.kd
    .uniform_work_group_size: 1
    .uses_dynamic_stack: false
    .vgpr_count:     17
    .vgpr_spill_count: 0
    .wavefront_size: 64
  - .args:
      - .actual_access:  read_only
        .address_space:  global
        .offset:         0
        .size:           8
        .value_kind:     global_buffer
      - .address_space:  global
        .offset:         8
        .size:           8
        .value_kind:     global_buffer
      - .address_space:  global
        .offset:         16
        .size:           8
        .value_kind:     global_buffer
      - .actual_access:  read_only
        .address_space:  global
        .offset:         24
        .size:           8
        .value_kind:     global_buffer
      - .offset:         32
        .size:           4
        .value_kind:     by_value
      - .offset:         40
        .size:           8
        .value_kind:     by_value
      - .offset:         48
        .size:           8
        .value_kind:     by_value
      - .offset:         56
        .size:           8
        .value_kind:     by_value
      - .offset:         64
        .size:           4
        .value_kind:     by_value
      - .offset:         68
        .size:           4
        .value_kind:     by_value
      - .offset:         72
        .size:           4
        .value_kind:     by_value
      - .offset:         80
        .size:           8
        .value_kind:     by_value
      - .offset:         88
        .size:           1
        .value_kind:     by_value
      - .offset:         96
        .size:           4
        .value_kind:     hidden_block_count_x
      - .offset:         100
        .size:           4
        .value_kind:     hidden_block_count_y
      - .offset:         104
        .size:           4
        .value_kind:     hidden_block_count_z
      - .offset:         108
        .size:           2
        .value_kind:     hidden_group_size_x
      - .offset:         110
        .size:           2
        .value_kind:     hidden_group_size_y
      - .offset:         112
        .size:           2
        .value_kind:     hidden_group_size_z
      - .offset:         114
        .size:           2
        .value_kind:     hidden_remainder_x
      - .offset:         116
        .size:           2
        .value_kind:     hidden_remainder_y
      - .offset:         118
        .size:           2
        .value_kind:     hidden_remainder_z
      - .offset:         136
        .size:           8
        .value_kind:     hidden_global_offset_x
      - .offset:         144
        .size:           8
        .value_kind:     hidden_global_offset_y
      - .offset:         152
        .size:           8
        .value_kind:     hidden_global_offset_z
      - .offset:         160
        .size:           2
        .value_kind:     hidden_grid_dims
    .group_segment_fixed_size: 0
    .kernarg_segment_align: 8
    .kernarg_segment_size: 352
    .language:       OpenCL C
    .language_version:
      - 2
      - 0
    .max_flat_workgroup_size: 1024
    .name:           _ZN4vllm23rotary_embedding_kernelIN3c104HalfENS1_8BFloat16ELb1EEEvPKlPT_S7_PKT0_illliiilb
    .private_segment_fixed_size: 0
    .sgpr_count:     40
    .sgpr_spill_count: 0
    .symbol:         _ZN4vllm23rotary_embedding_kernelIN3c104HalfENS1_8BFloat16ELb1EEEvPKlPT_S7_PKT0_illliiilb.kd
    .uniform_work_group_size: 1
    .uses_dynamic_stack: false
    .vgpr_count:     17
    .vgpr_spill_count: 0
    .wavefront_size: 64
  - .args:
      - .actual_access:  read_only
        .address_space:  global
        .offset:         0
        .size:           8
        .value_kind:     global_buffer
      - .address_space:  global
        .offset:         8
        .size:           8
        .value_kind:     global_buffer
      - .address_space:  global
        .offset:         16
        .size:           8
        .value_kind:     global_buffer
      - .actual_access:  read_only
        .address_space:  global
        .offset:         24
        .size:           8
        .value_kind:     global_buffer
      - .offset:         32
        .size:           4
        .value_kind:     by_value
      - .offset:         40
        .size:           8
        .value_kind:     by_value
      - .offset:         48
        .size:           8
        .value_kind:     by_value
      - .offset:         56
        .size:           8
        .value_kind:     by_value
      - .offset:         64
        .size:           4
        .value_kind:     by_value
      - .offset:         68
        .size:           4
        .value_kind:     by_value
      - .offset:         72
        .size:           4
        .value_kind:     by_value
      - .offset:         80
        .size:           8
        .value_kind:     by_value
      - .offset:         88
        .size:           1
        .value_kind:     by_value
      - .offset:         96
        .size:           4
        .value_kind:     hidden_block_count_x
      - .offset:         100
        .size:           4
        .value_kind:     hidden_block_count_y
      - .offset:         104
        .size:           4
        .value_kind:     hidden_block_count_z
      - .offset:         108
        .size:           2
        .value_kind:     hidden_group_size_x
      - .offset:         110
        .size:           2
        .value_kind:     hidden_group_size_y
      - .offset:         112
        .size:           2
        .value_kind:     hidden_group_size_z
      - .offset:         114
        .size:           2
        .value_kind:     hidden_remainder_x
      - .offset:         116
        .size:           2
        .value_kind:     hidden_remainder_y
      - .offset:         118
        .size:           2
        .value_kind:     hidden_remainder_z
      - .offset:         136
        .size:           8
        .value_kind:     hidden_global_offset_x
      - .offset:         144
        .size:           8
        .value_kind:     hidden_global_offset_y
      - .offset:         152
        .size:           8
        .value_kind:     hidden_global_offset_z
      - .offset:         160
        .size:           2
        .value_kind:     hidden_grid_dims
    .group_segment_fixed_size: 0
    .kernarg_segment_align: 8
    .kernarg_segment_size: 352
    .language:       OpenCL C
    .language_version:
      - 2
      - 0
    .max_flat_workgroup_size: 1024
    .name:           _ZN4vllm23rotary_embedding_kernelIN3c104HalfENS1_8BFloat16ELb0EEEvPKlPT_S7_PKT0_illliiilb
    .private_segment_fixed_size: 0
    .sgpr_count:     40
    .sgpr_spill_count: 0
    .symbol:         _ZN4vllm23rotary_embedding_kernelIN3c104HalfENS1_8BFloat16ELb0EEEvPKlPT_S7_PKT0_illliiilb.kd
    .uniform_work_group_size: 1
    .uses_dynamic_stack: false
    .vgpr_count:     15
    .vgpr_spill_count: 0
    .wavefront_size: 64
  - .args:
      - .actual_access:  read_only
        .address_space:  global
        .offset:         0
        .size:           8
        .value_kind:     global_buffer
      - .address_space:  global
        .offset:         8
        .size:           8
        .value_kind:     global_buffer
      - .address_space:  global
        .offset:         16
        .size:           8
        .value_kind:     global_buffer
      - .actual_access:  read_only
        .address_space:  global
        .offset:         24
        .size:           8
        .value_kind:     global_buffer
      - .offset:         32
        .size:           4
        .value_kind:     by_value
      - .offset:         40
        .size:           8
        .value_kind:     by_value
      - .offset:         48
        .size:           8
        .value_kind:     by_value
      - .offset:         56
        .size:           8
        .value_kind:     by_value
      - .offset:         64
        .size:           4
        .value_kind:     by_value
      - .offset:         68
        .size:           4
        .value_kind:     by_value
      - .offset:         72
        .size:           4
        .value_kind:     by_value
      - .offset:         80
        .size:           8
        .value_kind:     by_value
      - .offset:         88
        .size:           1
        .value_kind:     by_value
      - .offset:         96
        .size:           4
        .value_kind:     hidden_block_count_x
      - .offset:         100
        .size:           4
        .value_kind:     hidden_block_count_y
      - .offset:         104
        .size:           4
        .value_kind:     hidden_block_count_z
      - .offset:         108
        .size:           2
        .value_kind:     hidden_group_size_x
      - .offset:         110
        .size:           2
        .value_kind:     hidden_group_size_y
      - .offset:         112
        .size:           2
        .value_kind:     hidden_group_size_z
      - .offset:         114
        .size:           2
        .value_kind:     hidden_remainder_x
      - .offset:         116
        .size:           2
        .value_kind:     hidden_remainder_y
      - .offset:         118
        .size:           2
        .value_kind:     hidden_remainder_z
      - .offset:         136
        .size:           8
        .value_kind:     hidden_global_offset_x
      - .offset:         144
        .size:           8
        .value_kind:     hidden_global_offset_y
      - .offset:         152
        .size:           8
        .value_kind:     hidden_global_offset_z
      - .offset:         160
        .size:           2
        .value_kind:     hidden_grid_dims
    .group_segment_fixed_size: 0
    .kernarg_segment_align: 8
    .kernarg_segment_size: 352
    .language:       OpenCL C
    .language_version:
      - 2
      - 0
    .max_flat_workgroup_size: 1024
    .name:           _ZN4vllm23rotary_embedding_kernelIN3c108BFloat16EfLb1EEEvPKlPT_S6_PKT0_illliiilb
    .private_segment_fixed_size: 0
    .sgpr_count:     41
    .sgpr_spill_count: 0
    .symbol:         _ZN4vllm23rotary_embedding_kernelIN3c108BFloat16EfLb1EEEvPKlPT_S6_PKT0_illliiilb.kd
    .uniform_work_group_size: 1
    .uses_dynamic_stack: false
    .vgpr_count:     18
    .vgpr_spill_count: 0
    .wavefront_size: 64
  - .args:
      - .actual_access:  read_only
        .address_space:  global
        .offset:         0
        .size:           8
        .value_kind:     global_buffer
      - .address_space:  global
        .offset:         8
        .size:           8
        .value_kind:     global_buffer
      - .address_space:  global
        .offset:         16
        .size:           8
        .value_kind:     global_buffer
      - .actual_access:  read_only
        .address_space:  global
        .offset:         24
        .size:           8
        .value_kind:     global_buffer
      - .offset:         32
        .size:           4
        .value_kind:     by_value
      - .offset:         40
        .size:           8
        .value_kind:     by_value
      - .offset:         48
        .size:           8
        .value_kind:     by_value
      - .offset:         56
        .size:           8
        .value_kind:     by_value
      - .offset:         64
        .size:           4
        .value_kind:     by_value
      - .offset:         68
        .size:           4
        .value_kind:     by_value
      - .offset:         72
        .size:           4
        .value_kind:     by_value
      - .offset:         80
        .size:           8
        .value_kind:     by_value
      - .offset:         88
        .size:           1
        .value_kind:     by_value
      - .offset:         96
        .size:           4
        .value_kind:     hidden_block_count_x
      - .offset:         100
        .size:           4
        .value_kind:     hidden_block_count_y
      - .offset:         104
        .size:           4
        .value_kind:     hidden_block_count_z
      - .offset:         108
        .size:           2
        .value_kind:     hidden_group_size_x
      - .offset:         110
        .size:           2
        .value_kind:     hidden_group_size_y
      - .offset:         112
        .size:           2
        .value_kind:     hidden_group_size_z
      - .offset:         114
        .size:           2
        .value_kind:     hidden_remainder_x
      - .offset:         116
        .size:           2
        .value_kind:     hidden_remainder_y
      - .offset:         118
        .size:           2
        .value_kind:     hidden_remainder_z
      - .offset:         136
        .size:           8
        .value_kind:     hidden_global_offset_x
      - .offset:         144
        .size:           8
        .value_kind:     hidden_global_offset_y
      - .offset:         152
        .size:           8
        .value_kind:     hidden_global_offset_z
      - .offset:         160
        .size:           2
        .value_kind:     hidden_grid_dims
    .group_segment_fixed_size: 0
    .kernarg_segment_align: 8
    .kernarg_segment_size: 352
    .language:       OpenCL C
    .language_version:
      - 2
      - 0
    .max_flat_workgroup_size: 1024
    .name:           _ZN4vllm23rotary_embedding_kernelIN3c108BFloat16EfLb0EEEvPKlPT_S6_PKT0_illliiilb
    .private_segment_fixed_size: 0
    .sgpr_count:     41
    .sgpr_spill_count: 0
    .symbol:         _ZN4vllm23rotary_embedding_kernelIN3c108BFloat16EfLb0EEEvPKlPT_S6_PKT0_illliiilb.kd
    .uniform_work_group_size: 1
    .uses_dynamic_stack: false
    .vgpr_count:     19
    .vgpr_spill_count: 0
    .wavefront_size: 64
  - .args:
      - .actual_access:  read_only
        .address_space:  global
        .offset:         0
        .size:           8
        .value_kind:     global_buffer
      - .address_space:  global
        .offset:         8
        .size:           8
        .value_kind:     global_buffer
      - .address_space:  global
        .offset:         16
        .size:           8
        .value_kind:     global_buffer
      - .actual_access:  read_only
        .address_space:  global
        .offset:         24
        .size:           8
        .value_kind:     global_buffer
      - .offset:         32
        .size:           4
        .value_kind:     by_value
      - .offset:         40
        .size:           8
        .value_kind:     by_value
      - .offset:         48
        .size:           8
        .value_kind:     by_value
      - .offset:         56
        .size:           8
        .value_kind:     by_value
      - .offset:         64
        .size:           4
        .value_kind:     by_value
      - .offset:         68
        .size:           4
        .value_kind:     by_value
      - .offset:         72
        .size:           4
        .value_kind:     by_value
      - .offset:         80
        .size:           8
        .value_kind:     by_value
      - .offset:         88
        .size:           1
        .value_kind:     by_value
      - .offset:         96
        .size:           4
        .value_kind:     hidden_block_count_x
      - .offset:         100
        .size:           4
        .value_kind:     hidden_block_count_y
      - .offset:         104
        .size:           4
        .value_kind:     hidden_block_count_z
      - .offset:         108
        .size:           2
        .value_kind:     hidden_group_size_x
      - .offset:         110
        .size:           2
        .value_kind:     hidden_group_size_y
      - .offset:         112
        .size:           2
        .value_kind:     hidden_group_size_z
      - .offset:         114
        .size:           2
        .value_kind:     hidden_remainder_x
      - .offset:         116
        .size:           2
        .value_kind:     hidden_remainder_y
      - .offset:         118
        .size:           2
        .value_kind:     hidden_remainder_z
      - .offset:         136
        .size:           8
        .value_kind:     hidden_global_offset_x
      - .offset:         144
        .size:           8
        .value_kind:     hidden_global_offset_y
      - .offset:         152
        .size:           8
        .value_kind:     hidden_global_offset_z
      - .offset:         160
        .size:           2
        .value_kind:     hidden_grid_dims
    .group_segment_fixed_size: 0
    .kernarg_segment_align: 8
    .kernarg_segment_size: 352
    .language:       OpenCL C
    .language_version:
      - 2
      - 0
    .max_flat_workgroup_size: 1024
    .name:           _ZN4vllm23rotary_embedding_kernelIN3c108BFloat16ENS1_4HalfELb1EEEvPKlPT_S7_PKT0_illliiilb
    .private_segment_fixed_size: 0
    .sgpr_count:     40
    .sgpr_spill_count: 0
    .symbol:         _ZN4vllm23rotary_embedding_kernelIN3c108BFloat16ENS1_4HalfELb1EEEvPKlPT_S7_PKT0_illliiilb.kd
    .uniform_work_group_size: 1
    .uses_dynamic_stack: false
    .vgpr_count:     18
    .vgpr_spill_count: 0
    .wavefront_size: 64
  - .args:
      - .actual_access:  read_only
        .address_space:  global
        .offset:         0
        .size:           8
        .value_kind:     global_buffer
      - .address_space:  global
        .offset:         8
        .size:           8
        .value_kind:     global_buffer
      - .address_space:  global
        .offset:         16
        .size:           8
        .value_kind:     global_buffer
      - .actual_access:  read_only
        .address_space:  global
        .offset:         24
        .size:           8
        .value_kind:     global_buffer
      - .offset:         32
        .size:           4
        .value_kind:     by_value
      - .offset:         40
        .size:           8
        .value_kind:     by_value
      - .offset:         48
        .size:           8
        .value_kind:     by_value
      - .offset:         56
        .size:           8
        .value_kind:     by_value
      - .offset:         64
        .size:           4
        .value_kind:     by_value
      - .offset:         68
        .size:           4
        .value_kind:     by_value
      - .offset:         72
        .size:           4
        .value_kind:     by_value
      - .offset:         80
        .size:           8
        .value_kind:     by_value
      - .offset:         88
        .size:           1
        .value_kind:     by_value
      - .offset:         96
        .size:           4
        .value_kind:     hidden_block_count_x
      - .offset:         100
        .size:           4
        .value_kind:     hidden_block_count_y
      - .offset:         104
        .size:           4
        .value_kind:     hidden_block_count_z
      - .offset:         108
        .size:           2
        .value_kind:     hidden_group_size_x
      - .offset:         110
        .size:           2
        .value_kind:     hidden_group_size_y
      - .offset:         112
        .size:           2
        .value_kind:     hidden_group_size_z
      - .offset:         114
        .size:           2
        .value_kind:     hidden_remainder_x
      - .offset:         116
        .size:           2
        .value_kind:     hidden_remainder_y
      - .offset:         118
        .size:           2
        .value_kind:     hidden_remainder_z
      - .offset:         136
        .size:           8
        .value_kind:     hidden_global_offset_x
      - .offset:         144
        .size:           8
        .value_kind:     hidden_global_offset_y
      - .offset:         152
        .size:           8
        .value_kind:     hidden_global_offset_z
      - .offset:         160
        .size:           2
        .value_kind:     hidden_grid_dims
    .group_segment_fixed_size: 0
    .kernarg_segment_align: 8
    .kernarg_segment_size: 352
    .language:       OpenCL C
    .language_version:
      - 2
      - 0
    .max_flat_workgroup_size: 1024
    .name:           _ZN4vllm23rotary_embedding_kernelIN3c108BFloat16ENS1_4HalfELb0EEEvPKlPT_S7_PKT0_illliiilb
    .private_segment_fixed_size: 0
    .sgpr_count:     41
    .sgpr_spill_count: 0
    .symbol:         _ZN4vllm23rotary_embedding_kernelIN3c108BFloat16ENS1_4HalfELb0EEEvPKlPT_S7_PKT0_illliiilb.kd
    .uniform_work_group_size: 1
    .uses_dynamic_stack: false
    .vgpr_count:     19
    .vgpr_spill_count: 0
    .wavefront_size: 64
  - .args:
      - .actual_access:  read_only
        .address_space:  global
        .offset:         0
        .size:           8
        .value_kind:     global_buffer
      - .address_space:  global
        .offset:         8
        .size:           8
        .value_kind:     global_buffer
      - .address_space:  global
        .offset:         16
        .size:           8
        .value_kind:     global_buffer
      - .actual_access:  read_only
        .address_space:  global
        .offset:         24
        .size:           8
        .value_kind:     global_buffer
      - .offset:         32
        .size:           4
        .value_kind:     by_value
      - .offset:         40
        .size:           8
        .value_kind:     by_value
      - .offset:         48
        .size:           8
        .value_kind:     by_value
      - .offset:         56
        .size:           8
        .value_kind:     by_value
      - .offset:         64
        .size:           4
        .value_kind:     by_value
      - .offset:         68
        .size:           4
        .value_kind:     by_value
      - .offset:         72
        .size:           4
        .value_kind:     by_value
      - .offset:         80
        .size:           8
        .value_kind:     by_value
      - .offset:         88
        .size:           1
        .value_kind:     by_value
      - .offset:         96
        .size:           4
        .value_kind:     hidden_block_count_x
      - .offset:         100
        .size:           4
        .value_kind:     hidden_block_count_y
      - .offset:         104
        .size:           4
        .value_kind:     hidden_block_count_z
      - .offset:         108
        .size:           2
        .value_kind:     hidden_group_size_x
      - .offset:         110
        .size:           2
        .value_kind:     hidden_group_size_y
      - .offset:         112
        .size:           2
        .value_kind:     hidden_group_size_z
      - .offset:         114
        .size:           2
        .value_kind:     hidden_remainder_x
      - .offset:         116
        .size:           2
        .value_kind:     hidden_remainder_y
      - .offset:         118
        .size:           2
        .value_kind:     hidden_remainder_z
      - .offset:         136
        .size:           8
        .value_kind:     hidden_global_offset_x
      - .offset:         144
        .size:           8
        .value_kind:     hidden_global_offset_y
      - .offset:         152
        .size:           8
        .value_kind:     hidden_global_offset_z
      - .offset:         160
        .size:           2
        .value_kind:     hidden_grid_dims
    .group_segment_fixed_size: 0
    .kernarg_segment_align: 8
    .kernarg_segment_size: 352
    .language:       OpenCL C
    .language_version:
      - 2
      - 0
    .max_flat_workgroup_size: 1024
    .name:           _ZN4vllm23rotary_embedding_kernelIN3c108BFloat16ES2_Lb1EEEvPKlPT_S6_PKT0_illliiilb
    .private_segment_fixed_size: 0
    .sgpr_count:     40
    .sgpr_spill_count: 0
    .symbol:         _ZN4vllm23rotary_embedding_kernelIN3c108BFloat16ES2_Lb1EEEvPKlPT_S6_PKT0_illliiilb.kd
    .uniform_work_group_size: 1
    .uses_dynamic_stack: false
    .vgpr_count:     18
    .vgpr_spill_count: 0
    .wavefront_size: 64
  - .args:
      - .actual_access:  read_only
        .address_space:  global
        .offset:         0
        .size:           8
        .value_kind:     global_buffer
      - .address_space:  global
        .offset:         8
        .size:           8
        .value_kind:     global_buffer
      - .address_space:  global
        .offset:         16
        .size:           8
        .value_kind:     global_buffer
      - .actual_access:  read_only
        .address_space:  global
        .offset:         24
        .size:           8
        .value_kind:     global_buffer
      - .offset:         32
        .size:           4
        .value_kind:     by_value
      - .offset:         40
        .size:           8
        .value_kind:     by_value
      - .offset:         48
        .size:           8
        .value_kind:     by_value
      - .offset:         56
        .size:           8
        .value_kind:     by_value
      - .offset:         64
        .size:           4
        .value_kind:     by_value
      - .offset:         68
        .size:           4
        .value_kind:     by_value
      - .offset:         72
        .size:           4
        .value_kind:     by_value
      - .offset:         80
        .size:           8
        .value_kind:     by_value
      - .offset:         88
        .size:           1
        .value_kind:     by_value
      - .offset:         96
        .size:           4
        .value_kind:     hidden_block_count_x
      - .offset:         100
        .size:           4
        .value_kind:     hidden_block_count_y
      - .offset:         104
        .size:           4
        .value_kind:     hidden_block_count_z
      - .offset:         108
        .size:           2
        .value_kind:     hidden_group_size_x
      - .offset:         110
        .size:           2
        .value_kind:     hidden_group_size_y
      - .offset:         112
        .size:           2
        .value_kind:     hidden_group_size_z
      - .offset:         114
        .size:           2
        .value_kind:     hidden_remainder_x
      - .offset:         116
        .size:           2
        .value_kind:     hidden_remainder_y
      - .offset:         118
        .size:           2
        .value_kind:     hidden_remainder_z
      - .offset:         136
        .size:           8
        .value_kind:     hidden_global_offset_x
      - .offset:         144
        .size:           8
        .value_kind:     hidden_global_offset_y
      - .offset:         152
        .size:           8
        .value_kind:     hidden_global_offset_z
      - .offset:         160
        .size:           2
        .value_kind:     hidden_grid_dims
    .group_segment_fixed_size: 0
    .kernarg_segment_align: 8
    .kernarg_segment_size: 352
    .language:       OpenCL C
    .language_version:
      - 2
      - 0
    .max_flat_workgroup_size: 1024
    .name:           _ZN4vllm23rotary_embedding_kernelIN3c108BFloat16ES2_Lb0EEEvPKlPT_S6_PKT0_illliiilb
    .private_segment_fixed_size: 0
    .sgpr_count:     41
    .sgpr_spill_count: 0
    .symbol:         _ZN4vllm23rotary_embedding_kernelIN3c108BFloat16ES2_Lb0EEEvPKlPT_S6_PKT0_illliiilb.kd
    .uniform_work_group_size: 1
    .uses_dynamic_stack: false
    .vgpr_count:     19
    .vgpr_spill_count: 0
    .wavefront_size: 64
amdhsa.target:   amdgcn-amd-amdhsa--gfx906
amdhsa.version:
  - 1
  - 2
...

	.end_amdgpu_metadata
